;; amdgpu-corpus repo=ROCm/rocFFT kind=compiled arch=gfx1030 opt=O3
	.text
	.amdgcn_target "amdgcn-amd-amdhsa--gfx1030"
	.amdhsa_code_object_version 6
	.protected	bluestein_single_back_len1690_dim1_dp_op_CI_CI ; -- Begin function bluestein_single_back_len1690_dim1_dp_op_CI_CI
	.globl	bluestein_single_back_len1690_dim1_dp_op_CI_CI
	.p2align	8
	.type	bluestein_single_back_len1690_dim1_dp_op_CI_CI,@function
bluestein_single_back_len1690_dim1_dp_op_CI_CI: ; @bluestein_single_back_len1690_dim1_dp_op_CI_CI
; %bb.0:
	v_mul_u32_u24_e32 v1, 0x184, v0
	s_mov_b64 s[50:51], s[2:3]
	s_mov_b64 s[48:49], s[0:1]
	s_load_dwordx4 s[0:3], s[4:5], 0x28
	s_add_u32 s48, s48, s7
	v_lshrrev_b32_e32 v1, 16, v1
	s_addc_u32 s49, s49, 0
	v_mov_b32_e32 v4, 0
	v_add_nc_u32_e32 v3, s6, v1
	v_mov_b32_e32 v2, v3
	buffer_store_dword v2, off, s[48:51], 0 offset:4 ; 4-byte Folded Spill
	buffer_store_dword v3, off, s[48:51], 0 offset:8 ; 4-byte Folded Spill
	s_waitcnt lgkmcnt(0)
	v_cmp_gt_u64_e32 vcc_lo, s[0:1], v[3:4]
	s_and_saveexec_b32 s0, vcc_lo
	s_cbranch_execz .LBB0_23
; %bb.1:
	s_clause 0x1
	s_load_dwordx2 s[14:15], s[4:5], 0x0
	s_load_dwordx2 s[12:13], s[4:5], 0x38
	v_mul_lo_u16 v1, 0xa9, v1
	v_sub_nc_u16 v0, v0, v1
	v_and_b32_e32 v1, 0xffff, v0
	v_cmp_gt_u16_e32 vcc_lo, 0x82, v0
	v_lshlrev_b32_e32 v255, 4, v1
	buffer_store_dword v1, off, s[48:51], 0 ; 4-byte Folded Spill
	s_and_saveexec_b32 s1, vcc_lo
	s_cbranch_execz .LBB0_3
; %bb.2:
	s_load_dwordx2 s[6:7], s[4:5], 0x18
	s_waitcnt lgkmcnt(0)
	global_load_dwordx4 v[0:3], v255, s[14:15]
	v_add_co_u32 v90, s0, s14, v255
	v_add_co_ci_u32_e64 v91, null, s15, 0, s0
	v_add_co_u32 v4, s0, 0x800, v90
	v_add_co_ci_u32_e64 v5, s0, 0, v91, s0
	v_add_co_u32 v8, s0, 0x1000, v90
	v_add_co_ci_u32_e64 v9, s0, 0, v91, s0
	;; [unrolled: 2-line block ×3, first 2 shown]
	v_add_co_u32 v16, s0, 0x2000, v90
	s_load_dwordx4 s[8:11], s[6:7], 0x0
	s_clause 0x2
	buffer_load_dword v6, off, s[48:51], 0 offset:4
	buffer_load_dword v7, off, s[48:51], 0 offset:8
	buffer_load_dword v14, off, s[48:51], 0
	v_add_co_ci_u32_e64 v17, s0, 0, v91, s0
	v_add_co_u32 v20, s0, 0x2800, v90
	v_add_co_ci_u32_e64 v21, s0, 0, v91, s0
	v_add_co_u32 v24, s0, 0x3000, v90
	;; [unrolled: 2-line block ×6, first 2 shown]
	v_add_co_ci_u32_e64 v85, s0, 0, v91, s0
	s_waitcnt lgkmcnt(0)
	s_mul_i32 s6, s9, 0x820
	s_mul_hi_u32 s7, s8, 0x820
	s_add_i32 s7, s7, s6
	s_waitcnt vmcnt(2)
	v_mov_b32_e32 v10, v6
	s_waitcnt vmcnt(0)
	v_mad_u64_u32 v[26:27], null, s8, v14, 0
	v_mad_u64_u32 v[22:23], null, s10, v10, 0
	v_mov_b32_e32 v7, v27
	v_mov_b32_e32 v6, v23
	v_mad_u64_u32 v[30:31], null, s9, v14, v[7:8]
	v_mad_u64_u32 v[10:11], null, s11, v10, v[6:7]
	global_load_dwordx4 v[4:7], v[4:5], off offset:32
	v_mov_b32_e32 v27, v30
	v_mov_b32_e32 v23, v10
	v_lshlrev_b64 v[26:27], 4, v[26:27]
	s_clause 0x4
	global_load_dwordx4 v[8:11], v[8:9], off offset:64
	global_load_dwordx4 v[12:15], v[12:13], off offset:96
	;; [unrolled: 1-line block ×5, first 2 shown]
	v_lshlrev_b64 v[30:31], 4, v[22:23]
	global_load_dwordx4 v[20:23], v[20:21], off offset:160
	v_add_co_u32 v30, s0, s2, v30
	v_add_co_ci_u32_e64 v31, s0, s3, v31, s0
	s_mul_i32 s2, s8, 0x820
	v_add_co_u32 v40, s0, v30, v26
	v_add_co_ci_u32_e64 v41, s0, v31, v27, s0
	global_load_dwordx4 v[24:27], v[24:25], off offset:192
	v_add_co_u32 v44, s0, v40, s2
	v_add_co_ci_u32_e64 v45, s0, s7, v41, s0
	global_load_dwordx4 v[28:31], v[28:29], off offset:224
	v_add_co_u32 v48, s0, v44, s2
	v_add_co_ci_u32_e64 v49, s0, s7, v45, s0
	s_clause 0x1
	global_load_dwordx4 v[40:43], v[40:41], off
	global_load_dwordx4 v[44:47], v[44:45], off
	v_add_co_u32 v52, s0, v48, s2
	v_add_co_ci_u32_e64 v53, s0, s7, v49, s0
	global_load_dwordx4 v[48:51], v[48:49], off
	v_add_co_u32 v56, s0, v52, s2
	v_add_co_ci_u32_e64 v57, s0, s7, v53, s0
	;; [unrolled: 3-line block ×5, first 2 shown]
	v_add_co_u32 v72, s0, v68, s2
	v_add_co_ci_u32_e64 v73, s0, s7, v69, s0
	v_add_co_u32 v76, s0, v72, s2
	v_add_co_ci_u32_e64 v77, s0, s7, v73, s0
	;; [unrolled: 2-line block ×3, first 2 shown]
	global_load_dwordx4 v[64:67], v[64:65], off
	global_load_dwordx4 v[68:71], v[68:69], off
	;; [unrolled: 1-line block ×5, first 2 shown]
	v_add_co_u32 v88, s0, v86, s2
	v_add_co_ci_u32_e64 v89, s0, s7, v87, s0
	v_add_co_u32 v92, s0, 0x5800, v90
	v_add_co_ci_u32_e64 v93, s0, 0, v91, s0
	;; [unrolled: 2-line block ×4, first 2 shown]
	global_load_dwordx4 v[84:87], v[84:85], off offset:320
	global_load_dwordx4 v[88:91], v[88:89], off
	s_clause 0x1
	global_load_dwordx4 v[92:95], v[92:93], off offset:352
	global_load_dwordx4 v[96:99], v[96:97], off offset:384
	global_load_dwordx4 v[100:103], v[100:101], off
	s_waitcnt vmcnt(15)
	v_mul_f64 v[104:105], v[42:43], v[2:3]
	v_mul_f64 v[2:3], v[40:41], v[2:3]
	s_waitcnt vmcnt(14)
	v_mul_f64 v[106:107], v[46:47], v[6:7]
	v_mul_f64 v[6:7], v[44:45], v[6:7]
	;; [unrolled: 3-line block ×5, first 2 shown]
	v_fma_f64 v[40:41], v[40:41], v[0:1], v[104:105]
	s_waitcnt vmcnt(10)
	v_mul_f64 v[104:105], v[62:63], v[22:23]
	v_mul_f64 v[22:23], v[60:61], v[22:23]
	v_fma_f64 v[42:43], v[42:43], v[0:1], -v[2:3]
	v_fma_f64 v[0:1], v[44:45], v[4:5], v[106:107]
	v_fma_f64 v[2:3], v[46:47], v[4:5], -v[6:7]
	v_fma_f64 v[4:5], v[48:49], v[8:9], v[108:109]
	;; [unrolled: 2-line block ×3, first 2 shown]
	v_fma_f64 v[10:11], v[54:55], v[12:13], -v[14:15]
	s_waitcnt vmcnt(9)
	v_mul_f64 v[44:45], v[66:67], v[26:27]
	v_mul_f64 v[26:27], v[64:65], v[26:27]
	s_waitcnt vmcnt(8)
	v_mul_f64 v[46:47], v[70:71], v[30:31]
	v_mul_f64 v[30:31], v[68:69], v[30:31]
	;; [unrolled: 3-line block ×4, first 2 shown]
	v_fma_f64 v[12:13], v[56:57], v[16:17], v[112:113]
	v_fma_f64 v[14:15], v[58:59], v[16:17], -v[18:19]
	v_fma_f64 v[16:17], v[60:61], v[20:21], v[104:105]
	v_fma_f64 v[18:19], v[62:63], v[20:21], -v[22:23]
	s_waitcnt vmcnt(4)
	v_mul_f64 v[116:117], v[82:83], v[86:87]
	v_mul_f64 v[86:87], v[80:81], v[86:87]
	s_waitcnt vmcnt(2)
	v_mul_f64 v[118:119], v[90:91], v[94:95]
	v_mul_f64 v[94:95], v[88:89], v[94:95]
	;; [unrolled: 3-line block ×3, first 2 shown]
	v_fma_f64 v[20:21], v[64:65], v[24:25], v[44:45]
	v_fma_f64 v[22:23], v[66:67], v[24:25], -v[26:27]
	v_fma_f64 v[24:25], v[68:69], v[28:29], v[46:47]
	v_fma_f64 v[26:27], v[70:71], v[28:29], -v[30:31]
	;; [unrolled: 2-line block ×7, first 2 shown]
	ds_write_b128 v255, v[40:43]
	ds_write_b128 v255, v[0:3] offset:2080
	ds_write_b128 v255, v[4:7] offset:4160
	ds_write_b128 v255, v[8:11] offset:6240
	ds_write_b128 v255, v[12:15] offset:8320
	ds_write_b128 v255, v[16:19] offset:10400
	ds_write_b128 v255, v[20:23] offset:12480
	ds_write_b128 v255, v[24:27] offset:14560
	ds_write_b128 v255, v[28:31] offset:16640
	ds_write_b128 v255, v[32:35] offset:18720
	ds_write_b128 v255, v[36:39] offset:20800
	ds_write_b128 v255, v[44:47] offset:22880
	ds_write_b128 v255, v[48:51] offset:24960
.LBB0_3:
	s_or_b32 exec_lo, exec_lo, s1
	s_load_dwordx2 s[2:3], s[4:5], 0x20
	s_waitcnt lgkmcnt(0)
	s_waitcnt_vscnt null, 0x0
	s_barrier
	buffer_gl0_inv
                                        ; implicit-def: $vgpr4_vgpr5
                                        ; implicit-def: $vgpr48_vgpr49
                                        ; implicit-def: $vgpr44_vgpr45
                                        ; implicit-def: $vgpr40_vgpr41
                                        ; implicit-def: $vgpr36_vgpr37
                                        ; implicit-def: $vgpr32_vgpr33
                                        ; implicit-def: $vgpr28_vgpr29
                                        ; implicit-def: $vgpr24_vgpr25
                                        ; implicit-def: $vgpr20_vgpr21
                                        ; implicit-def: $vgpr16_vgpr17
                                        ; implicit-def: $vgpr12_vgpr13
                                        ; implicit-def: $vgpr8_vgpr9
                                        ; implicit-def: $vgpr0_vgpr1
	s_and_saveexec_b32 s0, vcc_lo
	s_cbranch_execz .LBB0_5
; %bb.4:
	ds_read_b128 v[4:7], v255
	ds_read_b128 v[48:51], v255 offset:2080
	ds_read_b128 v[44:47], v255 offset:4160
	;; [unrolled: 1-line block ×12, first 2 shown]
.LBB0_5:
	s_or_b32 exec_lo, exec_lo, s0
	buffer_load_dword v148, off, s[48:51], 0 ; 4-byte Folded Reload
	s_waitcnt lgkmcnt(0)
	v_add_f64 v[106:107], v[50:51], -v[2:3]
	v_add_f64 v[62:63], v[48:49], -v[0:1]
	s_mov_b32 s16, 0x4267c47c
	s_mov_b32 s6, 0x42a4c3d2
	;; [unrolled: 1-line block ×6, first 2 shown]
	v_add_f64 v[56:57], v[48:49], v[0:1]
	v_add_f64 v[104:105], v[50:51], v[2:3]
	v_add_f64 v[92:93], v[46:47], -v[10:11]
	v_add_f64 v[68:69], v[44:45], -v[8:9]
	s_mov_b32 s10, 0xe00740e9
	s_mov_b32 s8, 0x1ea71119
	;; [unrolled: 1-line block ×10, first 2 shown]
	v_mul_f64 v[80:81], v[106:107], s[16:17]
	v_mul_f64 v[82:83], v[62:63], s[16:17]
	;; [unrolled: 1-line block ×6, first 2 shown]
	v_add_f64 v[52:53], v[44:45], v[8:9]
	v_add_f64 v[54:55], v[46:47], v[10:11]
	v_add_f64 v[70:71], v[42:43], -v[14:15]
	v_add_f64 v[66:67], v[40:41], -v[12:13]
	v_mul_f64 v[108:109], v[92:93], s[6:7]
	v_mul_f64 v[122:123], v[68:69], s[6:7]
	;; [unrolled: 1-line block ×6, first 2 shown]
	s_mov_b32 s28, 0xb2365da1
	s_mov_b32 s26, 0x93053d00
	;; [unrolled: 1-line block ×6, first 2 shown]
	v_fma_f64 v[76:77], v[56:57], s[10:11], v[80:81]
	v_fma_f64 v[78:79], v[104:105], s[10:11], -v[82:83]
	v_fma_f64 v[84:85], v[56:57], s[8:9], v[151:152]
	v_fma_f64 v[86:87], v[104:105], s[8:9], -v[167:168]
	;; [unrolled: 2-line block ×3, first 2 shown]
	v_add_f64 v[60:61], v[40:41], v[12:13]
	v_add_f64 v[64:65], v[42:43], v[14:15]
	v_add_f64 v[72:73], v[36:37], -v[16:17]
	v_add_f64 v[58:59], v[38:39], -v[18:19]
	v_mul_f64 v[110:111], v[70:71], s[18:19]
	v_mul_f64 v[116:117], v[66:67], s[18:19]
	v_fma_f64 v[114:115], v[52:53], s[8:9], v[108:109]
	v_fma_f64 v[118:119], v[54:55], s[8:9], -v[122:123]
	v_mul_f64 v[136:137], v[70:71], s[24:25]
	v_fma_f64 v[126:127], v[52:53], s[28:29], v[124:125]
	v_mul_f64 v[163:164], v[66:67], s[24:25]
	v_fma_f64 v[128:129], v[54:55], s[28:29], -v[153:154]
	v_mul_f64 v[155:156], v[70:71], s[30:31]
	v_fma_f64 v[130:131], v[52:53], s[26:27], v[146:147]
	v_mul_f64 v[175:176], v[66:67], s[30:31]
	v_fma_f64 v[134:135], v[54:55], s[26:27], -v[179:180]
	v_add_f64 v[76:77], v[4:5], v[76:77]
	v_add_f64 v[78:79], v[6:7], v[78:79]
	;; [unrolled: 1-line block ×6, first 2 shown]
	s_mov_b32 s38, 0x24c2f84
	s_mov_b32 s39, 0x3fe5384d
	;; [unrolled: 1-line block ×4, first 2 shown]
	v_add_f64 v[74:75], v[36:37], v[16:17]
	v_add_f64 v[120:121], v[38:39], v[18:19]
	v_add_f64 v[94:95], v[32:33], -v[20:21]
	v_add_f64 v[100:101], v[34:35], -v[22:23]
	v_mul_f64 v[112:113], v[58:59], s[22:23]
	v_mul_f64 v[132:133], v[72:73], s[22:23]
	v_fma_f64 v[138:139], v[60:61], s[20:21], v[110:111]
	v_fma_f64 v[140:141], v[64:65], s[20:21], -v[116:117]
	v_mul_f64 v[142:143], v[58:59], s[38:39]
	v_fma_f64 v[144:145], v[64:65], s[26:27], -v[163:164]
	v_mul_f64 v[169:170], v[72:73], s[38:39]
	v_fma_f64 v[157:158], v[60:61], s[28:29], v[155:156]
	v_add_f64 v[76:77], v[114:115], v[76:77]
	v_add_f64 v[78:79], v[118:119], v[78:79]
	v_fma_f64 v[114:115], v[60:61], s[26:27], v[136:137]
	v_add_f64 v[84:85], v[126:127], v[84:85]
	v_add_f64 v[86:87], v[128:129], v[86:87]
	;; [unrolled: 1-line block ×3, first 2 shown]
	v_mul_f64 v[173:174], v[58:59], s[40:41]
	v_mul_f64 v[177:178], v[72:73], s[40:41]
	v_fma_f64 v[130:131], v[64:65], s[28:29], -v[175:176]
	v_add_f64 v[90:91], v[134:135], v[90:91]
	s_mov_b32 s36, 0xd0032e0c
	s_mov_b32 s43, 0xbfe5384d
	;; [unrolled: 1-line block ×6, first 2 shown]
	v_add_f64 v[96:97], v[32:33], v[20:21]
	v_add_f64 v[102:103], v[34:35], v[22:23]
	v_add_f64 v[98:99], v[28:29], -v[24:25]
	v_add_f64 v[118:119], v[30:31], -v[26:27]
	v_mul_f64 v[126:127], v[100:101], s[42:43]
	v_mul_f64 v[128:129], v[94:95], s[42:43]
	v_fma_f64 v[161:162], v[74:75], s[28:29], v[112:113]
	v_fma_f64 v[185:186], v[120:121], s[28:29], -v[132:133]
	v_add_f64 v[76:77], v[138:139], v[76:77]
	v_add_f64 v[78:79], v[140:141], v[78:79]
	;; [unrolled: 1-line block ×3, first 2 shown]
	v_fma_f64 v[140:141], v[74:75], s[36:37], v[142:143]
	v_mul_f64 v[138:139], v[100:101], s[34:35]
	v_add_f64 v[86:87], v[144:145], v[86:87]
	v_fma_f64 v[187:188], v[120:121], s[36:37], -v[169:170]
	v_mul_f64 v[149:150], v[94:95], s[34:35]
	v_add_f64 v[88:89], v[157:158], v[88:89]
	v_fma_f64 v[189:190], v[74:75], s[10:11], v[173:174]
	v_fma_f64 v[191:192], v[120:121], s[10:11], -v[177:178]
	v_mul_f64 v[159:160], v[100:101], s[6:7]
	v_mul_f64 v[165:166], v[94:95], s[6:7]
	v_add_f64 v[90:91], v[130:131], v[90:91]
	v_add_f64 v[114:115], v[28:29], v[24:25]
	;; [unrolled: 1-line block ×3, first 2 shown]
	v_mul_f64 v[134:135], v[98:99], s[24:25]
	v_mul_f64 v[130:131], v[118:119], s[24:25]
	v_fma_f64 v[193:194], v[96:97], s[36:37], v[126:127]
	v_fma_f64 v[195:196], v[102:103], s[36:37], -v[128:129]
	v_mul_f64 v[144:145], v[98:99], s[40:41]
	v_mul_f64 v[157:158], v[118:119], s[42:43]
	v_add_f64 v[76:77], v[161:162], v[76:77]
	v_add_f64 v[78:79], v[185:186], v[78:79]
	v_mul_f64 v[161:162], v[98:99], s[42:43]
	v_add_f64 v[84:85], v[140:141], v[84:85]
	v_fma_f64 v[185:186], v[96:97], s[20:21], v[138:139]
	v_mul_f64 v[140:141], v[118:119], s[40:41]
	v_add_f64 v[86:87], v[187:188], v[86:87]
	v_fma_f64 v[187:188], v[102:103], s[20:21], -v[149:150]
	s_load_dwordx2 s[0:1], s[4:5], 0x8
	v_add_f64 v[88:89], v[189:190], v[88:89]
	v_fma_f64 v[189:190], v[96:97], s[8:9], v[159:160]
	v_fma_f64 v[197:198], v[102:103], s[8:9], -v[165:166]
	v_add_f64 v[90:91], v[191:192], v[90:91]
	v_fma_f64 v[199:200], v[171:172], s[26:27], -v[134:135]
	v_fma_f64 v[191:192], v[114:115], s[26:27], v[130:131]
	v_fma_f64 v[203:204], v[171:172], s[10:11], -v[144:145]
	v_fma_f64 v[205:206], v[114:115], s[36:37], v[157:158]
	v_add_f64 v[76:77], v[193:194], v[76:77]
	v_add_f64 v[78:79], v[195:196], v[78:79]
	v_fma_f64 v[207:208], v[171:172], s[36:37], -v[161:162]
	v_add_f64 v[84:85], v[185:186], v[84:85]
	v_fma_f64 v[201:202], v[114:115], s[10:11], v[140:141]
	v_add_f64 v[86:87], v[187:188], v[86:87]
	v_add_f64 v[185:186], v[189:190], v[88:89]
	v_add_f64 v[187:188], v[197:198], v[90:91]
	v_add_f64 v[88:89], v[191:192], v[76:77]
	v_add_f64 v[90:91], v[199:200], v[78:79]
	v_add_f64 v[84:85], v[201:202], v[84:85]
	v_add_f64 v[86:87], v[203:204], v[86:87]
	v_add_f64 v[76:77], v[205:206], v[185:186]
	v_add_f64 v[78:79], v[207:208], v[187:188]
	s_waitcnt vmcnt(0)
	v_mul_lo_u16 v148, v148, 13
	buffer_store_dword v148, off, s[48:51], 0 offset:12 ; 4-byte Folded Spill
	s_waitcnt lgkmcnt(0)
	s_waitcnt_vscnt null, 0x0
	s_barrier
	buffer_gl0_inv
	s_and_saveexec_b32 s33, vcc_lo
	s_cbranch_execz .LBB0_7
; %bb.6:
	v_add_f64 v[50:51], v[6:7], v[50:51]
	v_add_f64 v[48:49], v[4:5], v[48:49]
	v_mul_f64 v[185:186], v[104:105], s[26:27]
	v_mul_f64 v[187:188], v[104:105], s[36:37]
	s_mov_b32 s5, 0x3fcea1e5
	s_mov_b32 s4, s24
	v_mul_f64 v[189:190], v[104:105], s[28:29]
	v_mul_f64 v[193:194], v[106:107], s[24:25]
	;; [unrolled: 1-line block ×9, first 2 shown]
	s_mov_b32 s45, 0x3fea55e2
	s_mov_b32 s44, s6
	v_mul_f64 v[199:200], v[104:105], s[8:9]
	v_mul_f64 v[106:107], v[106:107], s[22:23]
	;; [unrolled: 1-line block ×5, first 2 shown]
	v_add_f64 v[46:47], v[50:51], v[46:47]
	v_add_f64 v[44:45], v[48:49], v[44:45]
	v_fma_f64 v[225:226], v[62:63], s[4:5], v[185:186]
	v_fma_f64 v[231:232], v[62:63], s[38:39], v[187:188]
	;; [unrolled: 1-line block ×8, first 2 shown]
	v_mul_f64 v[48:49], v[104:105], s[10:11]
	v_mul_f64 v[50:51], v[56:57], s[8:9]
	;; [unrolled: 1-line block ×3, first 2 shown]
	v_fma_f64 v[233:234], v[56:57], s[36:37], v[197:198]
	v_add_f64 v[181:182], v[195:196], -v[181:182]
	v_fma_f64 v[195:196], v[56:57], s[36:37], -v[197:198]
	v_fma_f64 v[197:198], v[66:67], s[38:39], v[213:214]
	v_mul_f64 v[191:192], v[104:105], s[20:21]
	v_mul_f64 v[104:105], v[56:57], s[10:11]
	;; [unrolled: 1-line block ×5, first 2 shown]
	v_add_f64 v[42:43], v[46:47], v[42:43]
	v_add_f64 v[40:41], v[44:45], v[40:41]
	v_fma_f64 v[46:47], v[56:57], s[26:27], v[193:194]
	v_add_f64 v[225:226], v[6:7], v[225:226]
	v_add_f64 v[187:188], v[6:7], v[187:188]
	v_fma_f64 v[193:194], v[56:57], s[26:27], -v[193:194]
	v_mul_f64 v[44:45], v[102:103], s[28:29]
	v_fma_f64 v[203:204], v[68:69], s[40:41], v[203:204]
	v_fma_f64 v[249:250], v[68:69], s[18:19], v[207:208]
	v_add_f64 v[185:186], v[6:7], v[185:186]
	v_add_f64 v[231:232], v[6:7], v[231:232]
	v_mul_f64 v[207:208], v[58:59], s[44:45]
	v_add_f64 v[167:168], v[167:168], v[199:200]
	v_add_f64 v[233:234], v[4:5], v[233:234]
	v_fma_f64 v[199:200], v[60:61], s[36:37], v[215:216]
	v_add_f64 v[50:51], v[50:51], -v[151:152]
	v_add_f64 v[48:49], v[82:83], v[48:49]
	v_fma_f64 v[82:83], v[52:53], s[20:21], -v[211:212]
	v_fma_f64 v[151:152], v[72:73], s[6:7], v[221:222]
	v_mul_f64 v[201:202], v[54:55], s[26:27]
	v_mul_f64 v[227:228], v[100:101], s[22:23]
	;; [unrolled: 1-line block ×3, first 2 shown]
	v_add_f64 v[38:39], v[42:43], v[38:39]
	v_add_f64 v[36:37], v[40:41], v[36:37]
	v_fma_f64 v[40:41], v[52:53], s[10:11], v[205:206]
	v_add_f64 v[42:43], v[4:5], v[46:47]
	v_add_f64 v[225:226], v[247:248], v[225:226]
	v_fma_f64 v[247:248], v[66:67], s[44:45], v[217:218]
	v_fma_f64 v[217:218], v[66:67], s[6:7], v[217:218]
	v_fma_f64 v[46:47], v[52:53], s[10:11], -v[205:206]
	v_fma_f64 v[205:206], v[52:53], s[20:21], v[211:212]
	v_add_f64 v[193:194], v[4:5], v[193:194]
	v_mul_f64 v[243:244], v[52:53], s[8:9]
	v_add_f64 v[183:184], v[183:184], v[191:192]
	v_mul_f64 v[191:192], v[58:59], s[4:5]
	v_fma_f64 v[213:214], v[66:67], s[42:43], v[213:214]
	v_add_f64 v[185:186], v[203:204], v[185:186]
	v_mul_f64 v[92:93], v[92:93], s[38:39]
	v_mul_f64 v[239:240], v[64:65], s[28:29]
	v_add_f64 v[181:182], v[4:5], v[181:182]
	v_add_f64 v[50:51], v[4:5], v[50:51]
	v_fma_f64 v[215:216], v[60:61], s[36:37], -v[215:216]
	v_add_f64 v[167:168], v[6:7], v[167:168]
	v_mul_f64 v[241:242], v[120:121], s[20:21]
	v_add_f64 v[34:35], v[38:39], v[34:35]
	v_add_f64 v[32:33], v[36:37], v[32:33]
	;; [unrolled: 1-line block ×4, first 2 shown]
	v_fma_f64 v[38:39], v[56:57], s[28:29], v[106:107]
	v_fma_f64 v[56:57], v[56:57], s[28:29], -v[106:107]
	v_add_f64 v[106:107], v[4:5], v[195:196]
	v_fma_f64 v[195:196], v[72:73], s[4:5], v[223:224]
	v_add_f64 v[197:198], v[197:198], v[225:226]
	v_add_f64 v[46:47], v[46:47], v[193:194]
	;; [unrolled: 1-line block ×4, first 2 shown]
	v_fma_f64 v[205:206], v[74:75], s[8:9], v[207:208]
	v_fma_f64 v[187:188], v[72:73], s[44:45], v[221:222]
	;; [unrolled: 1-line block ×3, first 2 shown]
	v_add_f64 v[185:186], v[213:214], v[185:186]
	v_add_f64 v[108:109], v[243:244], -v[108:109]
	v_fma_f64 v[42:43], v[60:61], s[8:9], v[219:220]
	v_mul_f64 v[235:236], v[100:101], s[40:41]
	v_mul_f64 v[100:101], v[100:101], s[4:5]
	;; [unrolled: 1-line block ×3, first 2 shown]
	v_fma_f64 v[207:208], v[74:75], s[8:9], -v[207:208]
	v_add_f64 v[30:31], v[34:35], v[30:31]
	v_add_f64 v[28:29], v[32:33], v[28:29]
	;; [unrolled: 1-line block ×4, first 2 shown]
	v_add_f64 v[34:35], v[104:105], -v[80:81]
	v_fma_f64 v[36:37], v[68:69], s[42:43], v[209:210]
	v_fma_f64 v[68:69], v[68:69], s[38:39], v[209:210]
	v_fma_f64 v[104:105], v[60:61], s[8:9], -v[219:220]
	v_add_f64 v[82:83], v[82:83], v[106:107]
	v_fma_f64 v[106:107], v[94:95], s[30:31], v[44:45]
	v_fma_f64 v[209:210], v[94:95], s[40:41], v[229:230]
	v_add_f64 v[151:152], v[151:152], v[197:198]
	v_add_f64 v[193:194], v[247:248], v[193:194]
	;; [unrolled: 1-line block ×3, first 2 shown]
	v_fma_f64 v[179:180], v[96:97], s[28:29], v[227:228]
	v_add_f64 v[38:39], v[4:5], v[38:39]
	v_add_f64 v[56:57], v[4:5], v[56:57]
	;; [unrolled: 1-line block ×3, first 2 shown]
	v_fma_f64 v[44:45], v[94:95], s[22:23], v[44:45]
	v_add_f64 v[42:43], v[42:43], v[203:204]
	v_fma_f64 v[199:200], v[96:97], s[28:29], -v[227:228]
	v_fma_f64 v[203:204], v[96:97], s[10:11], v[235:236]
	v_add_f64 v[26:27], v[30:31], v[26:27]
	v_add_f64 v[24:25], v[28:29], v[24:25]
	;; [unrolled: 1-line block ×5, first 2 shown]
	v_fma_f64 v[62:63], v[74:75], s[26:27], -v[191:192]
	v_add_f64 v[4:5], v[4:5], v[34:35]
	v_fma_f64 v[30:31], v[52:53], s[36:37], v[92:93]
	v_add_f64 v[82:83], v[104:105], v[82:83]
	v_add_f64 v[104:105], v[6:7], v[183:184]
	v_mul_f64 v[183:184], v[96:97], s[8:9]
	v_add_f64 v[34:35], v[106:107], v[151:152]
	v_mul_f64 v[151:152], v[60:61], s[20:21]
	v_add_f64 v[187:188], v[189:190], v[193:194]
	v_add_f64 v[189:190], v[6:7], v[245:246]
	;; [unrolled: 1-line block ×3, first 2 shown]
	v_mul_f64 v[175:176], v[60:61], s[26:27]
	v_add_f64 v[6:7], v[6:7], v[48:49]
	v_add_f64 v[44:45], v[44:45], v[185:186]
	v_fma_f64 v[185:186], v[96:97], s[10:11], -v[235:236]
	v_add_f64 v[46:47], v[215:216], v[46:47]
	v_fma_f64 v[211:212], v[74:75], s[26:27], v[191:192]
	v_add_f64 v[22:23], v[26:27], v[22:23]
	v_add_f64 v[20:21], v[24:25], v[20:21]
	;; [unrolled: 1-line block ×3, first 2 shown]
	v_mul_f64 v[26:27], v[54:55], s[28:29]
	v_add_f64 v[28:29], v[68:69], v[32:33]
	v_fma_f64 v[32:33], v[66:67], s[40:41], v[237:238]
	v_mul_f64 v[68:69], v[70:71], s[40:41]
	v_mul_f64 v[70:71], v[52:53], s[26:27]
	v_add_f64 v[40:41], v[179:180], v[40:41]
	v_add_f64 v[62:63], v[62:63], v[82:83]
	v_mul_f64 v[82:83], v[52:53], s[28:29]
	v_fma_f64 v[52:53], v[52:53], s[36:37], -v[92:93]
	v_mul_f64 v[92:93], v[120:121], s[10:11]
	v_add_f64 v[80:81], v[80:81], v[104:105]
	v_mul_f64 v[104:105], v[64:65], s[20:21]
	v_mul_f64 v[64:65], v[64:65], s[26:27]
	;; [unrolled: 1-line block ×3, first 2 shown]
	v_add_f64 v[110:111], v[151:152], -v[110:111]
	v_add_f64 v[4:5], v[108:109], v[4:5]
	v_fma_f64 v[66:67], v[66:67], s[16:17], v[237:238]
	v_add_f64 v[36:37], v[36:37], v[189:190]
	v_mul_f64 v[54:55], v[54:55], s[8:9]
	v_add_f64 v[30:31], v[30:31], v[38:39]
	v_fma_f64 v[38:39], v[72:73], s[34:35], v[241:242]
	v_add_f64 v[136:137], v[175:176], -v[136:137]
	v_add_f64 v[26:27], v[153:154], v[26:27]
	v_add_f64 v[18:19], v[22:23], v[18:19]
	;; [unrolled: 1-line block ×3, first 2 shown]
	v_fma_f64 v[32:33], v[60:61], s[10:11], v[68:69]
	v_fma_f64 v[60:61], v[60:61], s[10:11], -v[68:69]
	v_mul_f64 v[68:69], v[74:75], s[28:29]
	v_add_f64 v[70:71], v[70:71], -v[146:147]
	v_add_f64 v[82:83], v[82:83], -v[124:125]
	v_add_f64 v[52:53], v[52:53], v[56:57]
	v_add_f64 v[92:93], v[177:178], v[92:93]
	v_mul_f64 v[177:178], v[96:97], s[36:37]
	v_add_f64 v[80:81], v[106:107], v[80:81]
	v_mul_f64 v[106:107], v[102:103], s[36:37]
	v_add_f64 v[64:65], v[163:164], v[64:65]
	v_add_f64 v[155:156], v[179:180], -v[155:156]
	v_add_f64 v[4:5], v[110:111], v[4:5]
	v_add_f64 v[16:17], v[20:21], v[16:17]
	;; [unrolled: 1-line block ×4, first 2 shown]
	v_mul_f64 v[122:123], v[96:97], s[20:21]
	v_mul_f64 v[153:154], v[74:75], s[10:11]
	;; [unrolled: 1-line block ×3, first 2 shown]
	v_add_f64 v[26:27], v[26:27], v[167:168]
	v_mul_f64 v[167:168], v[118:119], s[34:35]
	v_mul_f64 v[120:121], v[120:121], s[36:37]
	v_add_f64 v[104:105], v[116:117], v[104:105]
	v_mul_f64 v[56:57], v[74:75], s[36:37]
	v_add_f64 v[68:69], v[68:69], -v[112:113]
	v_add_f64 v[70:71], v[70:71], v[181:182]
	v_add_f64 v[50:51], v[82:83], v[50:51]
	v_fma_f64 v[72:73], v[72:73], s[18:19], v[241:242]
	v_mul_f64 v[163:164], v[102:103], s[20:21]
	v_add_f64 v[30:31], v[32:33], v[30:31]
	v_add_f64 v[14:15], v[18:19], v[14:15]
	v_mul_f64 v[124:125], v[171:172], s[20:21]
	v_mul_f64 v[179:180], v[114:115], s[26:27]
	;; [unrolled: 1-line block ×4, first 2 shown]
	v_add_f64 v[12:13], v[16:17], v[12:13]
	v_add_f64 v[36:37], v[38:39], v[36:37]
	v_fma_f64 v[38:39], v[96:97], s[26:27], v[100:101]
	v_add_f64 v[6:7], v[54:55], v[6:7]
	v_add_f64 v[153:154], v[153:154], -v[173:174]
	v_mul_f64 v[173:174], v[102:103], s[8:9]
	v_add_f64 v[26:27], v[64:65], v[26:27]
	v_fma_f64 v[64:65], v[114:115], s[20:21], v[167:168]
	v_add_f64 v[120:121], v[169:170], v[120:121]
	v_mul_f64 v[102:103], v[102:103], s[26:27]
	v_add_f64 v[132:133], v[132:133], v[146:147]
	v_add_f64 v[4:5], v[68:69], v[4:5]
	;; [unrolled: 1-line block ×5, first 2 shown]
	v_add_f64 v[106:107], v[177:178], -v[126:127]
	v_add_f64 v[20:21], v[136:137], v[50:51]
	v_add_f64 v[50:51], v[60:61], v[52:53]
	v_fma_f64 v[60:61], v[96:97], s[26:27], -v[100:101]
	v_add_f64 v[56:57], v[56:57], -v[142:143]
	v_mul_f64 v[54:55], v[171:172], s[10:11]
	v_mul_f64 v[108:109], v[171:172], s[36:37]
	;; [unrolled: 1-line block ×3, first 2 shown]
	v_add_f64 v[28:29], v[72:73], v[28:29]
	v_mul_f64 v[116:117], v[114:115], s[10:11]
	v_add_f64 v[6:7], v[104:105], v[6:7]
	v_fma_f64 v[104:105], v[74:75], s[20:21], -v[58:59]
	v_fma_f64 v[58:59], v[74:75], s[20:21], v[58:59]
	v_add_f64 v[66:67], v[165:166], v[173:174]
	v_add_f64 v[74:75], v[149:150], v[163:164]
	;; [unrolled: 1-line block ×3, first 2 shown]
	v_fma_f64 v[32:33], v[94:95], s[4:5], v[102:103]
	v_add_f64 v[80:81], v[122:123], -v[138:139]
	v_mul_f64 v[151:152], v[114:115], s[36:37]
	v_add_f64 v[72:73], v[183:184], -v[159:160]
	v_add_f64 v[18:19], v[153:154], v[22:23]
	v_mul_f64 v[52:53], v[118:119], s[44:45]
	v_add_f64 v[96:97], v[106:107], v[4:5]
	v_add_f64 v[4:5], v[64:65], v[40:41]
	buffer_load_dword v41, off, s[48:51], 0 offset:12 ; 4-byte Folded Reload
	v_mul_f64 v[169:170], v[118:119], s[22:23]
	v_add_f64 v[16:17], v[56:57], v[20:21]
	v_add_f64 v[46:47], v[207:208], v[46:47]
	v_fma_f64 v[201:202], v[94:95], s[16:17], v[229:230]
	v_add_f64 v[42:43], v[211:212], v[42:43]
	v_fma_f64 v[22:23], v[94:95], s[24:25], v[102:103]
	v_add_f64 v[94:95], v[14:15], v[10:11]
	v_add_f64 v[6:7], v[132:133], v[6:7]
	;; [unrolled: 1-line block ×5, first 2 shown]
	v_fma_f64 v[50:51], v[98:99], s[44:45], v[171:172]
	v_add_f64 v[58:59], v[66:67], v[70:71]
	v_add_f64 v[28:29], v[32:33], v[28:29]
	;; [unrolled: 1-line block ×4, first 2 shown]
	v_fma_f64 v[142:143], v[98:99], s[30:31], v[181:182]
	v_fma_f64 v[181:182], v[98:99], s[22:23], v[181:182]
	v_add_f64 v[54:55], v[144:145], v[54:55]
	v_add_f64 v[68:69], v[116:117], -v[140:141]
	v_add_f64 v[56:57], v[161:162], v[108:109]
	v_add_f64 v[66:67], v[151:152], -v[157:158]
	v_add_f64 v[72:73], v[72:73], v[18:19]
	v_add_f64 v[16:17], v[80:81], v[16:17]
	v_fma_f64 v[32:33], v[114:115], s[8:9], -v[52:53]
	v_fma_f64 v[146:147], v[114:115], s[28:29], v[169:170]
	v_fma_f64 v[169:170], v[114:115], s[28:29], -v[169:170]
	v_add_f64 v[62:63], v[185:186], v[62:63]
	v_add_f64 v[46:47], v[199:200], v[46:47]
	;; [unrolled: 1-line block ×3, first 2 shown]
	v_add_f64 v[92:93], v[179:180], -v[130:131]
	v_add_f64 v[60:61], v[60:61], v[20:21]
	v_fma_f64 v[82:83], v[98:99], s[18:19], v[124:125]
	v_fma_f64 v[124:125], v[98:99], s[34:35], v[124:125]
	v_fma_f64 v[167:168], v[114:115], s[20:21], -v[167:168]
	v_add_f64 v[48:49], v[201:202], v[187:188]
	v_add_f64 v[42:43], v[203:204], v[42:43]
	v_fma_f64 v[80:81], v[98:99], s[6:7], v[171:172]
	v_add_f64 v[36:37], v[22:23], v[36:37]
	v_fma_f64 v[52:53], v[114:115], s[8:9], v[52:53]
	v_add_f64 v[98:99], v[38:39], v[30:31]
	v_add_f64 v[2:3], v[94:95], v[2:3]
	;; [unrolled: 1-line block ×10, first 2 shown]
	v_mov_b32_e32 v40, 4
	v_add_f64 v[30:31], v[70:71], v[74:75]
	v_add_f64 v[28:29], v[92:93], v[96:97]
	;; [unrolled: 1-line block ×10, first 2 shown]
	s_waitcnt vmcnt(0)
	v_lshlrev_b32_sdwa v40, v40, v41 dst_sel:DWORD dst_unused:UNUSED_PAD src0_sel:DWORD src1_sel:WORD_0
	ds_write_b128 v40, v[0:3]
	ds_write_b128 v40, v[28:31] offset:16
	ds_write_b128 v40, v[24:27] offset:32
	;; [unrolled: 1-line block ×12, first 2 shown]
.LBB0_7:
	s_or_b32 exec_lo, exec_lo, s33
	buffer_load_dword v1, off, s[48:51], 0  ; 4-byte Folded Reload
	s_load_dwordx4 s[4:7], s[2:3], 0x0
	s_waitcnt vmcnt(0) lgkmcnt(0)
	s_barrier
	buffer_gl0_inv
	s_mov_b32 s2, 0x134454ff
	s_mov_b32 s3, 0x3fee6f0e
	s_mov_b32 s17, 0xbfee6f0e
	s_mov_b32 s16, s2
	s_mov_b32 s8, 0x4755a5e
	s_mov_b32 s9, 0x3fe2cf23
	s_mov_b32 s19, 0xbfe2cf23
	s_mov_b32 s18, s8
	s_mov_b32 s10, 0x372fe950
	s_mov_b32 s11, 0x3fd3c6ef
	s_mov_b32 s20, 0x9b97f4a8
	s_mov_b32 s21, 0x3fe9e377
	v_and_b32_e32 v0, 0xff, v1
	v_mul_lo_u16 v0, 0x4f, v0
	v_lshrrev_b16 v8, 10, v0
	v_mul_lo_u16 v0, v8, 13
	v_sub_nc_u16 v0, v1, v0
	v_and_b32_e32 v9, 0xff, v0
	v_mad_u64_u32 v[0:1], null, 0x90, v9, s[0:1]
	s_clause 0x8
	global_load_dwordx4 v[28:31], v[0:1], off offset:32
	global_load_dwordx4 v[48:51], v[0:1], off offset:64
	;; [unrolled: 1-line block ×4, first 2 shown]
	global_load_dwordx4 v[20:23], v[0:1], off
	global_load_dwordx4 v[68:71], v[0:1], off offset:16
	global_load_dwordx4 v[64:67], v[0:1], off offset:48
	;; [unrolled: 1-line block ×4, first 2 shown]
	ds_read_b128 v[0:3], v255 offset:8112
	ds_read_b128 v[4:7], v255 offset:13520
	;; [unrolled: 1-line block ×9, first 2 shown]
	s_waitcnt vmcnt(8) lgkmcnt(8)
	v_mul_f64 v[18:19], v[2:3], v[30:31]
	v_mul_f64 v[80:81], v[0:1], v[30:31]
	s_waitcnt vmcnt(7) lgkmcnt(7)
	v_mul_f64 v[82:83], v[6:7], v[50:51]
	v_mul_f64 v[92:93], v[4:5], v[50:51]
	;; [unrolled: 3-line block ×8, first 2 shown]
	s_waitcnt vmcnt(0) lgkmcnt(0)
	v_mul_f64 v[118:119], v[72:73], v[58:59]
	v_fma_f64 v[18:19], v[0:1], v[28:29], -v[18:19]
	v_fma_f64 v[80:81], v[2:3], v[28:29], v[80:81]
	v_fma_f64 v[4:5], v[4:5], v[48:49], -v[82:83]
	v_fma_f64 v[6:7], v[6:7], v[48:49], v[92:93]
	;; [unrolled: 2-line block ×3, first 2 shown]
	v_fma_f64 v[16:17], v[16:17], v[52:53], v[98:99]
	v_fma_f64 v[14:15], v[14:15], v[52:53], -v[100:101]
	v_mul_f64 v[82:83], v[74:75], v[58:59]
	v_fma_f64 v[24:25], v[24:25], v[20:21], -v[102:103]
	v_fma_f64 v[26:27], v[26:27], v[20:21], v[104:105]
	v_fma_f64 v[32:33], v[32:33], v[68:69], -v[106:107]
	v_fma_f64 v[34:35], v[34:35], v[68:69], v[108:109]
	;; [unrolled: 2-line block ×4, first 2 shown]
	v_fma_f64 v[74:75], v[74:75], v[56:57], v[118:119]
	ds_read_b128 v[0:3], v255
	s_waitcnt lgkmcnt(0)
	s_barrier
	buffer_gl0_inv
	v_add_f64 v[132:133], v[18:19], -v[4:5]
	v_add_f64 v[136:137], v[4:5], -v[18:19]
	v_add_f64 v[92:93], v[4:5], v[10:11]
	v_add_f64 v[94:95], v[6:7], v[12:13]
	;; [unrolled: 1-line block ×4, first 2 shown]
	v_fma_f64 v[72:73], v[72:73], v[56:57], -v[82:83]
	v_add_f64 v[106:107], v[80:81], -v[16:17]
	v_add_f64 v[108:109], v[6:7], -v[12:13]
	;; [unrolled: 1-line block ×6, first 2 shown]
	v_add_f64 v[100:101], v[36:37], v[40:41]
	v_add_f64 v[126:127], v[38:39], v[42:43]
	v_add_f64 v[130:131], v[34:35], v[74:75]
	v_add_f64 v[140:141], v[80:81], -v[6:7]
	v_add_f64 v[142:143], v[16:17], -v[12:13]
	;; [unrolled: 1-line block ×4, first 2 shown]
	v_add_f64 v[82:83], v[0:1], v[32:33]
	v_add_f64 v[102:103], v[34:35], -v[74:75]
	v_add_f64 v[104:105], v[38:39], -v[42:43]
	;; [unrolled: 1-line block ×3, first 2 shown]
	v_fma_f64 v[92:93], v[92:93], -0.5, v[24:25]
	v_fma_f64 v[94:95], v[94:95], -0.5, v[26:27]
	;; [unrolled: 1-line block ×4, first 2 shown]
	v_add_f64 v[118:119], v[32:33], v[72:73]
	v_add_f64 v[116:117], v[72:73], -v[40:41]
	v_add_f64 v[120:121], v[36:37], -v[32:33]
	;; [unrolled: 1-line block ×3, first 2 shown]
	v_add_f64 v[124:125], v[2:3], v[34:35]
	v_add_f64 v[32:33], v[32:33], -v[72:73]
	v_add_f64 v[128:129], v[36:37], -v[40:41]
	v_add_f64 v[18:19], v[24:25], v[18:19]
	v_add_f64 v[24:25], v[26:27], v[80:81]
	v_fma_f64 v[26:27], v[100:101], -0.5, v[0:1]
	v_fma_f64 v[80:81], v[126:127], -0.5, v[2:3]
	v_fma_f64 v[2:3], v[130:131], -0.5, v[2:3]
	v_add_f64 v[100:101], v[132:133], v[134:135]
	v_add_f64 v[126:127], v[140:141], v[142:143]
	;; [unrolled: 1-line block ×3, first 2 shown]
	v_add_f64 v[156:157], v[34:35], -v[38:39]
	v_add_f64 v[158:159], v[74:75], -v[42:43]
	v_add_f64 v[34:35], v[38:39], -v[34:35]
	v_fma_f64 v[154:155], v[106:107], s[16:17], v[92:93]
	v_fma_f64 v[148:149], v[110:111], s[16:17], v[94:95]
	;; [unrolled: 1-line block ×8, first 2 shown]
	v_fma_f64 v[0:1], v[118:119], -0.5, v[0:1]
	v_add_f64 v[118:119], v[136:137], v[138:139]
	v_add_f64 v[160:161], v[42:43], -v[74:75]
	v_add_f64 v[36:37], v[82:83], v[36:37]
	v_add_f64 v[82:83], v[114:115], v[116:117]
	;; [unrolled: 1-line block ×5, first 2 shown]
	v_fma_f64 v[18:19], v[102:103], s[2:3], v[26:27]
	v_fma_f64 v[24:25], v[102:103], s[16:17], v[26:27]
	;; [unrolled: 1-line block ×10, first 2 shown]
	v_add_f64 v[106:107], v[120:121], v[122:123]
	v_fma_f64 v[26:27], v[104:105], s[16:17], v[0:1]
	v_fma_f64 v[0:1], v[104:105], s[2:3], v[0:1]
	;; [unrolled: 1-line block ×6, first 2 shown]
	v_add_f64 v[34:35], v[34:35], v[160:161]
	v_add_f64 v[36:37], v[36:37], v[40:41]
	;; [unrolled: 1-line block ×5, first 2 shown]
	v_fma_f64 v[10:11], v[104:105], s[8:9], v[18:19]
	v_fma_f64 v[12:13], v[104:105], s[18:19], v[24:25]
	;; [unrolled: 1-line block ×10, first 2 shown]
	v_add_f64 v[100:101], v[156:157], v[158:159]
	v_fma_f64 v[18:19], v[102:103], s[8:9], v[26:27]
	v_fma_f64 v[0:1], v[102:103], s[18:19], v[0:1]
	;; [unrolled: 1-line block ×6, first 2 shown]
	v_add_f64 v[36:37], v[36:37], v[72:73]
	v_add_f64 v[38:39], v[38:39], v[74:75]
	;; [unrolled: 1-line block ×4, first 2 shown]
	v_fma_f64 v[10:11], v[82:83], s[10:11], v[10:11]
	v_fma_f64 v[74:75], v[82:83], s[10:11], v[12:13]
	v_mul_f64 v[102:103], v[120:121], s[20:21]
	v_mul_f64 v[32:33], v[112:113], s[8:9]
	;; [unrolled: 1-line block ×8, first 2 shown]
	v_fma_f64 v[82:83], v[106:107], s[10:11], v[18:19]
	v_fma_f64 v[106:107], v[106:107], s[10:11], v[0:1]
	;; [unrolled: 1-line block ×6, first 2 shown]
	v_add_f64 v[16:17], v[36:37], -v[4:5]
	v_add_f64 v[18:19], v[38:39], -v[6:7]
	v_fma_f64 v[102:103], v[94:95], s[8:9], -v[102:103]
	v_fma_f64 v[32:33], v[92:93], s[20:21], v[32:33]
	v_fma_f64 v[98:99], v[98:99], s[10:11], v[42:43]
	v_fma_f64 v[80:81], v[96:97], s[2:3], -v[80:81]
	v_fma_f64 v[104:105], v[112:113], s[20:21], v[104:105]
	v_fma_f64 v[108:109], v[114:115], s[10:11], v[108:109]
	v_fma_f64 v[110:111], v[116:117], s[16:17], -v[110:111]
	v_fma_f64 v[112:113], v[120:121], s[18:19], -v[118:119]
	v_add_f64 v[92:93], v[36:37], v[4:5]
	v_add_f64 v[94:95], v[38:39], v[6:7]
	v_mov_b32_e32 v114, 0x82
	v_mul_u32_u24_sdwa v8, v8, v114 dst_sel:DWORD dst_unused:UNUSED_PAD src0_sel:WORD_0 src1_sel:DWORD
	v_add_lshl_u32 v148, v8, v9, 4
	v_add_f64 v[40:41], v[74:75], v[102:103]
	v_add_f64 v[0:1], v[10:11], v[32:33]
	;; [unrolled: 1-line block ×8, first 2 shown]
	v_add_f64 v[72:73], v[10:11], -v[32:33]
	v_add_f64 v[96:97], v[82:83], -v[98:99]
	;; [unrolled: 1-line block ×8, first 2 shown]
	ds_write_b128 v148, v[92:95]
	ds_write_b128 v148, v[16:19] offset:1040
	ds_write_b128 v148, v[0:3] offset:208
	;; [unrolled: 1-line block ×9, first 2 shown]
	s_waitcnt lgkmcnt(0)
	s_barrier
	buffer_gl0_inv
	s_and_saveexec_b32 s2, vcc_lo
	s_cbranch_execz .LBB0_9
; %bb.8:
	ds_read_b128 v[92:95], v255
	ds_read_b128 v[0:3], v255 offset:2080
	ds_read_b128 v[4:7], v255 offset:4160
	;; [unrolled: 1-line block ×12, first 2 shown]
.LBB0_9:
	s_or_b32 exec_lo, exec_lo, s2
	buffer_load_dword v9, off, s[48:51], 0  ; 4-byte Folded Reload
	s_mov_b32 s22, 0x42a4c3d2
	s_mov_b32 s23, 0xbfea55e2
	s_mov_b32 s8, 0x1ea71119
	s_mov_b32 s26, 0x66966769
	s_mov_b32 s20, 0x2ef20147
	s_mov_b32 s24, 0x24c2f84
	s_mov_b32 s30, 0x4bc48dbf
	s_mov_b32 s11, 0xbfddbe06
	s_mov_b32 s10, 0x4267c47c
	s_mov_b32 s9, 0x3fe22d96
	s_mov_b32 s27, 0xbfefc445
	s_mov_b32 s21, 0xbfedeba7
	s_mov_b32 s25, 0xbfe5384d
	s_mov_b32 s31, 0xbfcea1e5
	s_mov_b32 s2, 0xebaa3ed8
	s_mov_b32 s16, 0xb2365da1
	s_mov_b32 s18, 0xd0032e0c
	s_mov_b32 s28, 0x93053d00
	s_mov_b32 s3, 0x3fbedb7d
	s_mov_b32 s17, 0xbfd6b1d8
	s_mov_b32 s19, 0xbfe7f3cc
	s_mov_b32 s29, 0xbfef11f4
	s_mov_b32 s37, 0x3fe5384d
	s_mov_b32 s36, s24
	s_mov_b32 s34, s26
	s_mov_b32 s39, 0x3fedeba7
	s_mov_b32 s38, s20
	s_waitcnt vmcnt(0)
	v_add_nc_u32_e32 v8, 0xffffff7e, v9
	v_cndmask_b32_e32 v8, v8, v9, vcc_lo
	v_mul_i32_i24_e32 v9, 0xc0, v8
	v_mul_hi_i32_i24_e32 v8, 0xc0, v8
	v_add_co_u32 v104, s0, s0, v9
	v_add_co_ci_u32_e64 v105, s0, s1, v8, s0
	s_clause 0x3
	global_load_dwordx4 v[36:39], v[104:105], off offset:1872
	global_load_dwordx4 v[32:35], v[104:105], off offset:1888
	;; [unrolled: 1-line block ×4, first 2 shown]
	s_waitcnt vmcnt(3) lgkmcnt(11)
	v_mul_f64 v[106:107], v[2:3], v[38:39]
	v_mul_f64 v[108:109], v[0:1], v[38:39]
	v_fma_f64 v[0:1], v[0:1], v[36:37], -v[106:107]
	v_fma_f64 v[2:3], v[2:3], v[36:37], v[108:109]
	s_waitcnt vmcnt(2) lgkmcnt(10)
	v_mul_f64 v[106:107], v[6:7], v[34:35]
	v_mul_f64 v[108:109], v[4:5], v[34:35]
	v_add_f64 v[181:182], v[92:93], v[0:1]
	v_add_f64 v[183:184], v[94:95], v[2:3]
	v_fma_f64 v[132:133], v[4:5], v[32:33], -v[106:107]
	v_fma_f64 v[134:135], v[6:7], v[32:33], v[108:109]
	s_waitcnt vmcnt(1) lgkmcnt(9)
	v_mul_f64 v[4:5], v[14:15], v[26:27]
	v_mul_f64 v[6:7], v[12:13], v[26:27]
	v_fma_f64 v[136:137], v[12:13], v[24:25], -v[4:5]
	v_fma_f64 v[138:139], v[14:15], v[24:25], v[6:7]
	s_waitcnt vmcnt(0) lgkmcnt(8)
	v_mul_f64 v[4:5], v[42:43], v[10:11]
	v_mul_f64 v[6:7], v[40:41], v[10:11]
	v_fma_f64 v[140:141], v[40:41], v[8:9], -v[4:5]
	v_fma_f64 v[142:143], v[42:43], v[8:9], v[6:7]
	s_clause 0x1
	global_load_dwordx4 v[12:15], v[104:105], off offset:1936
	global_load_dwordx4 v[40:43], v[104:105], off offset:1952
	s_waitcnt vmcnt(1) lgkmcnt(7)
	v_mul_f64 v[4:5], v[18:19], v[14:15]
	v_fma_f64 v[144:145], v[16:17], v[12:13], -v[4:5]
	v_mul_f64 v[4:5], v[16:17], v[14:15]
	v_fma_f64 v[146:147], v[18:19], v[12:13], v[4:5]
	s_waitcnt vmcnt(0) lgkmcnt(6)
	v_mul_f64 v[4:5], v[74:75], v[42:43]
	v_fma_f64 v[149:150], v[72:73], v[40:41], -v[4:5]
	v_mul_f64 v[4:5], v[72:73], v[42:43]
	buffer_store_dword v40, off, s[48:51], 0 offset:16 ; 4-byte Folded Spill
	buffer_store_dword v41, off, s[48:51], 0 offset:20 ; 4-byte Folded Spill
	;; [unrolled: 1-line block ×4, first 2 shown]
	v_fma_f64 v[151:152], v[74:75], v[40:41], v[4:5]
	s_clause 0x1
	global_load_dwordx4 v[40:43], v[104:105], off offset:1968
	global_load_dwordx4 v[16:19], v[104:105], off offset:1984
	s_waitcnt vmcnt(1) lgkmcnt(5)
	v_mul_f64 v[4:5], v[98:99], v[42:43]
	v_fma_f64 v[153:154], v[96:97], v[40:41], -v[4:5]
	v_mul_f64 v[4:5], v[96:97], v[42:43]
	buffer_store_dword v40, off, s[48:51], 0 offset:32 ; 4-byte Folded Spill
	buffer_store_dword v41, off, s[48:51], 0 offset:36 ; 4-byte Folded Spill
	;; [unrolled: 1-line block ×4, first 2 shown]
	v_add_f64 v[229:230], v[149:150], -v[153:154]
	v_add_f64 v[225:226], v[149:150], v[153:154]
	v_mul_f64 v[233:234], v[229:230], s[30:31]
	v_fma_f64 v[155:156], v[98:99], v[40:41], v[4:5]
	s_clause 0x1
	global_load_dwordx4 v[40:43], v[104:105], off offset:2000
	global_load_dwordx4 v[72:75], v[104:105], off offset:2016
	s_waitcnt vmcnt(2) lgkmcnt(4)
	v_mul_f64 v[4:5], v[102:103], v[18:19]
	v_add_f64 v[223:224], v[151:152], -v[155:156]
	v_add_f64 v[231:232], v[151:152], v[155:156]
	v_fma_f64 v[157:158], v[100:101], v[16:17], -v[4:5]
	v_mul_f64 v[4:5], v[100:101], v[18:19]
	v_mul_f64 v[227:228], v[223:224], s[30:31]
	v_add_f64 v[217:218], v[144:145], -v[157:158]
	v_fma_f64 v[159:160], v[102:103], v[16:17], v[4:5]
	v_mul_f64 v[219:220], v[217:218], s[24:25]
	v_add_f64 v[213:214], v[146:147], -v[159:160]
	v_mul_f64 v[215:216], v[213:214], s[24:25]
	s_waitcnt vmcnt(1) lgkmcnt(3)
	v_mul_f64 v[4:5], v[82:83], v[42:43]
	v_fma_f64 v[161:162], v[80:81], v[40:41], -v[4:5]
	v_mul_f64 v[4:5], v[80:81], v[42:43]
	v_fma_f64 v[163:164], v[82:83], v[40:41], v[4:5]
	s_waitcnt vmcnt(0) lgkmcnt(2)
	v_mul_f64 v[4:5], v[78:79], v[74:75]
	v_fma_f64 v[165:166], v[76:77], v[72:73], -v[4:5]
	v_mul_f64 v[4:5], v[76:77], v[74:75]
	v_add_f64 v[199:200], v[136:137], -v[165:166]
	v_fma_f64 v[167:168], v[78:79], v[72:73], v[4:5]
	v_add_co_u32 v4, s0, 0x7d0, v104
	v_add_co_ci_u32_e64 v5, s0, 0, v105, s0
	s_clause 0x1
	global_load_dwordx4 v[76:79], v[104:105], off offset:2032
	global_load_dwordx4 v[80:83], v[4:5], off offset:48
	s_mov_b32 s0, 0xe00740e9
	s_mov_b32 s1, 0x3fec55a7
	v_mul_f64 v[207:208], v[199:200], s[26:27]
	v_add_f64 v[197:198], v[138:139], -v[167:168]
	v_mul_f64 v[205:206], v[197:198], s[26:27]
	s_waitcnt vmcnt(1) lgkmcnt(1)
	v_mul_f64 v[4:5], v[86:87], v[78:79]
	v_fma_f64 v[169:170], v[84:85], v[76:77], -v[4:5]
	v_mul_f64 v[4:5], v[84:85], v[78:79]
	v_fma_f64 v[171:172], v[86:87], v[76:77], v[4:5]
	s_waitcnt vmcnt(0) lgkmcnt(0)
	v_mul_f64 v[4:5], v[90:91], v[82:83]
	v_fma_f64 v[173:174], v[88:89], v[80:81], -v[4:5]
	v_mul_f64 v[4:5], v[88:89], v[82:83]
	v_add_f64 v[96:97], v[0:1], v[173:174]
	v_fma_f64 v[175:176], v[90:91], v[80:81], v[4:5]
	v_add_f64 v[4:5], v[2:3], -v[175:176]
	v_add_f64 v[106:107], v[2:3], v[175:176]
	v_mul_f64 v[84:85], v[4:5], s[22:23]
	v_mul_f64 v[6:7], v[4:5], s[10:11]
	;; [unrolled: 1-line block ×6, first 2 shown]
	v_fma_f64 v[100:101], v[96:97], s[8:9], -v[84:85]
	v_fma_f64 v[102:103], v[96:97], s[8:9], v[84:85]
	v_add_f64 v[84:85], v[0:1], -v[173:174]
	v_fma_f64 v[98:99], v[96:97], s[0:1], -v[6:7]
	v_fma_f64 v[6:7], v[96:97], s[0:1], v[6:7]
	v_fma_f64 v[108:109], v[96:97], s[2:3], -v[86:87]
	v_fma_f64 v[110:111], v[96:97], s[2:3], v[86:87]
	v_fma_f64 v[116:117], v[96:97], s[16:17], -v[88:89]
	v_fma_f64 v[118:119], v[96:97], s[16:17], v[88:89]
	v_fma_f64 v[124:125], v[96:97], s[18:19], -v[90:91]
	v_fma_f64 v[128:129], v[96:97], s[18:19], v[90:91]
	v_fma_f64 v[130:131], v[96:97], s[28:29], -v[4:5]
	v_fma_f64 v[4:5], v[96:97], s[28:29], v[4:5]
	v_mul_f64 v[86:87], v[84:85], s[10:11]
	v_mul_f64 v[88:89], v[84:85], s[22:23]
	;; [unrolled: 1-line block ×6, first 2 shown]
	v_add_f64 v[0:1], v[92:93], v[98:99]
	v_add_f64 v[98:99], v[92:93], v[110:111]
	;; [unrolled: 1-line block ×5, first 2 shown]
	s_mov_b32 s11, 0x3fddbe06
	v_fma_f64 v[112:113], v[106:107], s[0:1], v[86:87]
	v_fma_f64 v[114:115], v[106:107], s[0:1], -v[86:87]
	v_fma_f64 v[120:121], v[106:107], s[8:9], v[88:89]
	v_fma_f64 v[122:123], v[106:107], s[2:3], v[90:91]
	v_fma_f64 v[126:127], v[106:107], s[2:3], -v[90:91]
	v_fma_f64 v[177:178], v[106:107], s[16:17], v[96:97]
	v_fma_f64 v[88:89], v[106:107], s[8:9], -v[88:89]
	v_fma_f64 v[179:180], v[106:107], s[16:17], -v[96:97]
	v_fma_f64 v[185:186], v[106:107], s[18:19], v[104:105]
	v_fma_f64 v[187:188], v[106:107], s[18:19], -v[104:105]
	v_fma_f64 v[189:190], v[106:107], s[28:29], v[84:85]
	v_fma_f64 v[191:192], v[106:107], s[28:29], -v[84:85]
	v_add_f64 v[86:87], v[92:93], v[6:7]
	v_add_f64 v[106:107], v[92:93], v[100:101]
	;; [unrolled: 1-line block ×13, first 2 shown]
	v_add_f64 v[92:93], v[134:135], -v[171:172]
	v_add_f64 v[88:89], v[94:95], v[88:89]
	v_add_f64 v[108:109], v[94:95], v[179:180]
	;; [unrolled: 1-line block ×7, first 2 shown]
	v_add_f64 v[94:95], v[132:133], -v[169:170]
	v_add_f64 v[187:188], v[134:135], v[171:172]
	v_add_f64 v[189:190], v[136:137], v[165:166]
	;; [unrolled: 1-line block ×3, first 2 shown]
	v_mul_f64 v[193:194], v[92:93], s[22:23]
	v_mul_f64 v[195:196], v[94:95], s[22:23]
	v_fma_f64 v[4:5], v[185:186], s[8:9], -v[193:194]
	v_fma_f64 v[193:194], v[185:186], s[8:9], v[193:194]
	v_add_f64 v[0:1], v[4:5], v[0:1]
	v_fma_f64 v[4:5], v[187:188], s[8:9], v[195:196]
	v_add_f64 v[86:87], v[193:194], v[86:87]
	v_fma_f64 v[193:194], v[187:188], s[8:9], -v[195:196]
	v_fma_f64 v[195:196], v[231:232], s[28:29], -v[233:234]
	v_add_f64 v[2:3], v[4:5], v[2:3]
	v_fma_f64 v[4:5], v[189:190], s[2:3], -v[205:206]
	v_add_f64 v[84:85], v[193:194], v[84:85]
	v_fma_f64 v[193:194], v[189:190], s[2:3], v[205:206]
	v_add_f64 v[6:7], v[4:5], v[0:1]
	v_fma_f64 v[0:1], v[191:192], s[2:3], v[207:208]
	v_add_f64 v[4:5], v[142:143], -v[163:164]
	v_add_f64 v[86:87], v[193:194], v[86:87]
	v_fma_f64 v[193:194], v[191:192], s[2:3], -v[207:208]
	v_add_f64 v[100:101], v[0:1], v[2:3]
	v_add_f64 v[0:1], v[140:141], v[161:162]
	v_mul_f64 v[209:210], v[4:5], s[20:21]
	v_add_f64 v[84:85], v[193:194], v[84:85]
	v_fma_f64 v[2:3], v[0:1], s[16:17], -v[209:210]
	v_fma_f64 v[193:194], v[0:1], s[16:17], v[209:210]
	v_add_f64 v[102:103], v[2:3], v[6:7]
	v_add_f64 v[6:7], v[140:141], -v[161:162]
	v_add_f64 v[2:3], v[142:143], v[163:164]
	v_add_f64 v[86:87], v[193:194], v[86:87]
	v_mul_f64 v[211:212], v[6:7], s[20:21]
	v_fma_f64 v[201:202], v[2:3], s[16:17], v[211:212]
	v_fma_f64 v[193:194], v[2:3], s[16:17], -v[211:212]
	v_add_f64 v[100:101], v[201:202], v[100:101]
	v_add_f64 v[201:202], v[144:145], v[157:158]
	;; [unrolled: 1-line block ×3, first 2 shown]
	v_fma_f64 v[203:204], v[201:202], s[18:19], -v[215:216]
	v_fma_f64 v[193:194], v[201:202], s[18:19], v[215:216]
	v_add_f64 v[102:103], v[203:204], v[102:103]
	v_add_f64 v[203:204], v[146:147], v[159:160]
	;; [unrolled: 1-line block ×3, first 2 shown]
	v_fma_f64 v[193:194], v[203:204], s[18:19], -v[219:220]
	v_fma_f64 v[221:222], v[203:204], s[18:19], v[219:220]
	v_add_f64 v[193:194], v[193:194], v[84:85]
	v_fma_f64 v[84:85], v[225:226], s[28:29], v[227:228]
	v_add_f64 v[221:222], v[221:222], v[100:101]
	v_fma_f64 v[100:101], v[225:226], s[28:29], -v[227:228]
	v_mul_f64 v[227:228], v[223:224], s[10:11]
	v_add_f64 v[84:85], v[84:85], v[86:87]
	v_add_f64 v[86:87], v[195:196], v[193:194]
	v_mul_f64 v[193:194], v[92:93], s[20:21]
	v_add_f64 v[100:101], v[100:101], v[102:103]
	v_fma_f64 v[102:103], v[231:232], s[28:29], v[233:234]
	v_mul_f64 v[233:234], v[229:230], s[10:11]
	v_fma_f64 v[195:196], v[185:186], s[16:17], -v[193:194]
	v_fma_f64 v[193:194], v[185:186], s[16:17], v[193:194]
	v_add_f64 v[102:103], v[102:103], v[221:222]
	v_add_f64 v[106:107], v[195:196], v[106:107]
	v_mul_f64 v[195:196], v[94:95], s[20:21]
	v_add_f64 v[90:91], v[193:194], v[90:91]
	v_fma_f64 v[205:206], v[187:188], s[16:17], v[195:196]
	v_fma_f64 v[193:194], v[187:188], s[16:17], -v[195:196]
	v_fma_f64 v[195:196], v[231:232], s[0:1], -v[233:234]
	v_add_f64 v[104:105], v[205:206], v[104:105]
	v_mul_f64 v[205:206], v[197:198], s[30:31]
	v_add_f64 v[88:89], v[193:194], v[88:89]
	v_fma_f64 v[207:208], v[189:190], s[28:29], -v[205:206]
	v_fma_f64 v[193:194], v[189:190], s[28:29], v[205:206]
	v_add_f64 v[106:107], v[207:208], v[106:107]
	v_mul_f64 v[207:208], v[199:200], s[30:31]
	v_add_f64 v[90:91], v[193:194], v[90:91]
	v_fma_f64 v[209:210], v[191:192], s[28:29], v[207:208]
	v_fma_f64 v[193:194], v[191:192], s[28:29], -v[207:208]
	v_add_f64 v[104:105], v[209:210], v[104:105]
	v_mul_f64 v[209:210], v[4:5], s[36:37]
	v_add_f64 v[88:89], v[193:194], v[88:89]
	v_fma_f64 v[211:212], v[0:1], s[18:19], -v[209:210]
	v_fma_f64 v[193:194], v[0:1], s[18:19], v[209:210]
	v_add_f64 v[106:107], v[211:212], v[106:107]
	v_mul_f64 v[211:212], v[6:7], s[36:37]
	v_add_f64 v[90:91], v[193:194], v[90:91]
	v_fma_f64 v[215:216], v[2:3], s[18:19], v[211:212]
	v_fma_f64 v[193:194], v[2:3], s[18:19], -v[211:212]
	v_add_f64 v[104:105], v[215:216], v[104:105]
	v_mul_f64 v[215:216], v[213:214], s[34:35]
	v_add_f64 v[88:89], v[193:194], v[88:89]
	v_fma_f64 v[219:220], v[201:202], s[2:3], -v[215:216]
	v_fma_f64 v[193:194], v[201:202], s[2:3], v[215:216]
	v_add_f64 v[106:107], v[219:220], v[106:107]
	v_mul_f64 v[219:220], v[217:218], s[34:35]
	v_add_f64 v[90:91], v[193:194], v[90:91]
	v_fma_f64 v[193:194], v[203:204], s[2:3], -v[219:220]
	v_fma_f64 v[221:222], v[203:204], s[2:3], v[219:220]
	v_add_f64 v[193:194], v[193:194], v[88:89]
	v_fma_f64 v[88:89], v[225:226], s[0:1], v[227:228]
	v_add_f64 v[221:222], v[221:222], v[104:105]
	v_fma_f64 v[104:105], v[225:226], s[0:1], -v[227:228]
	v_mul_f64 v[227:228], v[223:224], s[24:25]
	v_add_f64 v[88:89], v[88:89], v[90:91]
	v_add_f64 v[90:91], v[195:196], v[193:194]
	v_mul_f64 v[193:194], v[92:93], s[30:31]
	v_add_f64 v[104:105], v[104:105], v[106:107]
	v_fma_f64 v[106:107], v[231:232], s[0:1], v[233:234]
	v_mul_f64 v[233:234], v[229:230], s[24:25]
	v_fma_f64 v[195:196], v[185:186], s[28:29], -v[193:194]
	v_fma_f64 v[193:194], v[185:186], s[28:29], v[193:194]
	v_add_f64 v[106:107], v[106:107], v[221:222]
	v_add_f64 v[114:115], v[195:196], v[114:115]
	v_mul_f64 v[195:196], v[94:95], s[30:31]
	v_add_f64 v[98:99], v[193:194], v[98:99]
	s_mov_b32 s31, 0x3fcea1e5
	v_fma_f64 v[205:206], v[187:188], s[28:29], v[195:196]
	v_fma_f64 v[193:194], v[187:188], s[28:29], -v[195:196]
	v_fma_f64 v[195:196], v[231:232], s[18:19], -v[233:234]
	v_add_f64 v[112:113], v[205:206], v[112:113]
	v_mul_f64 v[205:206], v[197:198], s[38:39]
	v_add_f64 v[96:97], v[193:194], v[96:97]
	v_fma_f64 v[207:208], v[189:190], s[16:17], -v[205:206]
	v_fma_f64 v[193:194], v[189:190], s[16:17], v[205:206]
	v_add_f64 v[114:115], v[207:208], v[114:115]
	v_mul_f64 v[207:208], v[199:200], s[38:39]
	v_add_f64 v[98:99], v[193:194], v[98:99]
	v_fma_f64 v[209:210], v[191:192], s[16:17], v[207:208]
	v_fma_f64 v[193:194], v[191:192], s[16:17], -v[207:208]
	v_add_f64 v[112:113], v[209:210], v[112:113]
	v_mul_f64 v[209:210], v[4:5], s[10:11]
	v_add_f64 v[96:97], v[193:194], v[96:97]
	v_fma_f64 v[211:212], v[0:1], s[0:1], -v[209:210]
	v_fma_f64 v[193:194], v[0:1], s[0:1], v[209:210]
	v_add_f64 v[114:115], v[211:212], v[114:115]
	v_mul_f64 v[211:212], v[6:7], s[10:11]
	v_add_f64 v[98:99], v[193:194], v[98:99]
	v_fma_f64 v[215:216], v[2:3], s[0:1], v[211:212]
	v_fma_f64 v[193:194], v[2:3], s[0:1], -v[211:212]
	v_add_f64 v[112:113], v[215:216], v[112:113]
	v_mul_f64 v[215:216], v[213:214], s[22:23]
	v_add_f64 v[96:97], v[193:194], v[96:97]
	v_fma_f64 v[219:220], v[201:202], s[8:9], -v[215:216]
	v_fma_f64 v[193:194], v[201:202], s[8:9], v[215:216]
	v_add_f64 v[114:115], v[219:220], v[114:115]
	v_mul_f64 v[219:220], v[217:218], s[22:23]
	v_add_f64 v[98:99], v[193:194], v[98:99]
	v_fma_f64 v[193:194], v[203:204], s[8:9], -v[219:220]
	v_fma_f64 v[221:222], v[203:204], s[8:9], v[219:220]
	v_add_f64 v[193:194], v[193:194], v[96:97]
	v_fma_f64 v[96:97], v[225:226], s[18:19], v[227:228]
	v_add_f64 v[221:222], v[221:222], v[112:113]
	v_fma_f64 v[112:113], v[225:226], s[18:19], -v[227:228]
	v_add_f64 v[96:97], v[96:97], v[98:99]
	v_add_f64 v[98:99], v[195:196], v[193:194]
	v_mul_f64 v[193:194], v[92:93], s[36:37]
	v_add_f64 v[112:113], v[112:113], v[114:115]
	v_fma_f64 v[114:115], v[231:232], s[18:19], v[233:234]
	v_fma_f64 v[195:196], v[185:186], s[18:19], -v[193:194]
	v_fma_f64 v[193:194], v[185:186], s[18:19], v[193:194]
	v_add_f64 v[114:115], v[114:115], v[221:222]
	v_add_f64 v[122:123], v[195:196], v[122:123]
	v_mul_f64 v[195:196], v[94:95], s[36:37]
	v_add_f64 v[110:111], v[193:194], v[110:111]
	v_fma_f64 v[205:206], v[187:188], s[18:19], v[195:196]
	v_fma_f64 v[193:194], v[187:188], s[18:19], -v[195:196]
	v_add_f64 v[120:121], v[205:206], v[120:121]
	v_mul_f64 v[205:206], v[197:198], s[10:11]
	v_add_f64 v[108:109], v[193:194], v[108:109]
	v_fma_f64 v[207:208], v[189:190], s[0:1], -v[205:206]
	v_fma_f64 v[193:194], v[189:190], s[0:1], v[205:206]
	v_add_f64 v[122:123], v[207:208], v[122:123]
	v_mul_f64 v[207:208], v[199:200], s[10:11]
	v_add_f64 v[110:111], v[193:194], v[110:111]
	v_fma_f64 v[209:210], v[191:192], s[0:1], v[207:208]
	v_fma_f64 v[193:194], v[191:192], s[0:1], -v[207:208]
	v_add_f64 v[120:121], v[209:210], v[120:121]
	v_mul_f64 v[209:210], v[4:5], s[26:27]
	v_add_f64 v[108:109], v[193:194], v[108:109]
	v_fma_f64 v[211:212], v[0:1], s[2:3], -v[209:210]
	v_fma_f64 v[193:194], v[0:1], s[2:3], v[209:210]
	v_add_f64 v[122:123], v[211:212], v[122:123]
	v_mul_f64 v[211:212], v[6:7], s[26:27]
	v_add_f64 v[110:111], v[193:194], v[110:111]
	s_mov_b32 s27, 0x3fea55e2
	s_mov_b32 s26, s22
	v_mul_f64 v[227:228], v[223:224], s[26:27]
	v_mul_f64 v[233:234], v[229:230], s[26:27]
	v_fma_f64 v[215:216], v[2:3], s[2:3], v[211:212]
	v_fma_f64 v[193:194], v[2:3], s[2:3], -v[211:212]
	v_fma_f64 v[195:196], v[231:232], s[8:9], -v[233:234]
	v_add_f64 v[120:121], v[215:216], v[120:121]
	v_mul_f64 v[215:216], v[213:214], s[30:31]
	v_add_f64 v[108:109], v[193:194], v[108:109]
	v_fma_f64 v[219:220], v[201:202], s[28:29], -v[215:216]
	v_fma_f64 v[193:194], v[201:202], s[28:29], v[215:216]
	v_add_f64 v[122:123], v[219:220], v[122:123]
	v_mul_f64 v[219:220], v[217:218], s[30:31]
	v_add_f64 v[110:111], v[193:194], v[110:111]
	v_fma_f64 v[193:194], v[203:204], s[28:29], -v[219:220]
	v_fma_f64 v[221:222], v[203:204], s[28:29], v[219:220]
	v_add_f64 v[193:194], v[193:194], v[108:109]
	v_fma_f64 v[108:109], v[225:226], s[8:9], v[227:228]
	v_add_f64 v[221:222], v[221:222], v[120:121]
	v_fma_f64 v[120:121], v[225:226], s[8:9], -v[227:228]
	v_mul_f64 v[227:228], v[223:224], s[20:21]
	v_add_f64 v[108:109], v[108:109], v[110:111]
	v_add_f64 v[110:111], v[195:196], v[193:194]
	v_mul_f64 v[193:194], v[92:93], s[34:35]
	v_add_f64 v[120:121], v[120:121], v[122:123]
	v_fma_f64 v[122:123], v[231:232], s[8:9], v[233:234]
	v_mul_f64 v[233:234], v[229:230], s[20:21]
	v_fma_f64 v[195:196], v[185:186], s[2:3], -v[193:194]
	v_fma_f64 v[193:194], v[185:186], s[2:3], v[193:194]
	v_add_f64 v[122:123], v[122:123], v[221:222]
	v_add_f64 v[126:127], v[195:196], v[126:127]
	v_mul_f64 v[195:196], v[94:95], s[34:35]
	v_add_f64 v[118:119], v[193:194], v[118:119]
	v_fma_f64 v[205:206], v[187:188], s[2:3], v[195:196]
	v_fma_f64 v[193:194], v[187:188], s[2:3], -v[195:196]
	v_fma_f64 v[195:196], v[231:232], s[16:17], -v[233:234]
	v_add_f64 v[124:125], v[205:206], v[124:125]
	v_mul_f64 v[205:206], v[197:198], s[22:23]
	v_add_f64 v[116:117], v[193:194], v[116:117]
	v_mul_f64 v[197:198], v[197:198], s[24:25]
	v_fma_f64 v[207:208], v[189:190], s[8:9], -v[205:206]
	v_fma_f64 v[193:194], v[189:190], s[8:9], v[205:206]
	v_mul_f64 v[205:206], v[213:214], s[20:21]
	v_add_f64 v[126:127], v[207:208], v[126:127]
	v_mul_f64 v[207:208], v[199:200], s[22:23]
	v_add_f64 v[118:119], v[193:194], v[118:119]
	v_mul_f64 v[199:200], v[199:200], s[24:25]
	v_fma_f64 v[209:210], v[191:192], s[8:9], v[207:208]
	v_fma_f64 v[193:194], v[191:192], s[8:9], -v[207:208]
	v_mul_f64 v[207:208], v[217:218], s[20:21]
	v_add_f64 v[124:125], v[209:210], v[124:125]
	v_mul_f64 v[209:210], v[4:5], s[30:31]
	v_add_f64 v[116:117], v[193:194], v[116:117]
	v_mul_f64 v[4:5], v[4:5], s[26:27]
	v_fma_f64 v[211:212], v[0:1], s[28:29], -v[209:210]
	v_fma_f64 v[193:194], v[0:1], s[28:29], v[209:210]
	v_mul_f64 v[209:210], v[223:224], s[34:35]
	v_add_f64 v[126:127], v[211:212], v[126:127]
	v_mul_f64 v[211:212], v[6:7], s[30:31]
	v_add_f64 v[118:119], v[193:194], v[118:119]
	v_mul_f64 v[6:7], v[6:7], s[26:27]
	v_fma_f64 v[215:216], v[2:3], s[28:29], v[211:212]
	v_fma_f64 v[193:194], v[2:3], s[28:29], -v[211:212]
	v_mul_f64 v[211:212], v[229:230], s[34:35]
	v_add_f64 v[124:125], v[215:216], v[124:125]
	v_mul_f64 v[215:216], v[213:214], s[10:11]
	v_add_f64 v[116:117], v[193:194], v[116:117]
	v_fma_f64 v[219:220], v[201:202], s[0:1], -v[215:216]
	v_fma_f64 v[193:194], v[201:202], s[0:1], v[215:216]
	v_add_f64 v[126:127], v[219:220], v[126:127]
	v_mul_f64 v[219:220], v[217:218], s[10:11]
	v_add_f64 v[118:119], v[193:194], v[118:119]
	v_fma_f64 v[193:194], v[203:204], s[0:1], -v[219:220]
	v_fma_f64 v[221:222], v[203:204], s[0:1], v[219:220]
	v_add_f64 v[193:194], v[193:194], v[116:117]
	v_fma_f64 v[116:117], v[225:226], s[16:17], v[227:228]
	v_add_f64 v[221:222], v[221:222], v[124:125]
	v_fma_f64 v[124:125], v[225:226], s[16:17], -v[227:228]
	v_add_f64 v[116:117], v[116:117], v[118:119]
	v_add_f64 v[118:119], v[195:196], v[193:194]
	v_mul_f64 v[193:194], v[92:93], s[10:11]
	v_mul_f64 v[195:196], v[94:95], s[10:11]
	v_add_f64 v[124:125], v[124:125], v[126:127]
	v_fma_f64 v[126:127], v[231:232], s[16:17], v[233:234]
	v_fma_f64 v[92:93], v[185:186], s[0:1], -v[193:194]
	v_fma_f64 v[94:95], v[187:188], s[0:1], v[195:196]
	v_add_f64 v[126:127], v[126:127], v[221:222]
	v_add_f64 v[92:93], v[92:93], v[130:131]
	;; [unrolled: 1-line block ×3, first 2 shown]
	v_fma_f64 v[128:129], v[189:190], s[18:19], -v[197:198]
	v_add_f64 v[92:93], v[128:129], v[92:93]
	v_fma_f64 v[128:129], v[191:192], s[18:19], v[199:200]
	v_add_f64 v[94:95], v[128:129], v[94:95]
	v_fma_f64 v[128:129], v[0:1], s[8:9], -v[4:5]
	v_fma_f64 v[0:1], v[0:1], s[8:9], v[4:5]
	v_add_f64 v[92:93], v[128:129], v[92:93]
	v_fma_f64 v[128:129], v[2:3], s[8:9], v[6:7]
	v_fma_f64 v[2:3], v[2:3], s[8:9], -v[6:7]
	v_add_f64 v[94:95], v[128:129], v[94:95]
	v_fma_f64 v[128:129], v[201:202], s[16:17], -v[205:206]
	v_add_f64 v[92:93], v[128:129], v[92:93]
	v_fma_f64 v[128:129], v[203:204], s[16:17], v[207:208]
	v_add_f64 v[94:95], v[128:129], v[94:95]
	v_fma_f64 v[128:129], v[225:226], s[2:3], -v[209:210]
	v_add_f64 v[128:129], v[128:129], v[92:93]
	v_fma_f64 v[92:93], v[231:232], s[2:3], v[211:212]
	v_add_f64 v[130:131], v[92:93], v[94:95]
	v_add_f64 v[92:93], v[181:182], v[132:133]
	;; [unrolled: 1-line block ×3, first 2 shown]
	v_fma_f64 v[132:133], v[185:186], s[0:1], v[193:194]
	v_fma_f64 v[134:135], v[187:188], s[0:1], -v[195:196]
	v_add_f64 v[92:93], v[92:93], v[136:137]
	v_add_f64 v[94:95], v[94:95], v[138:139]
	v_fma_f64 v[136:137], v[189:190], s[18:19], v[197:198]
	v_fma_f64 v[138:139], v[191:192], s[18:19], -v[199:200]
	v_add_f64 v[132:133], v[132:133], v[177:178]
	v_add_f64 v[134:135], v[134:135], v[179:180]
	;; [unrolled: 1-line block ×6, first 2 shown]
	v_fma_f64 v[132:133], v[201:202], s[16:17], v[205:206]
	v_fma_f64 v[134:135], v[203:204], s[16:17], -v[207:208]
	v_add_f64 v[92:93], v[92:93], v[144:145]
	v_add_f64 v[94:95], v[94:95], v[146:147]
	;; [unrolled: 1-line block ×4, first 2 shown]
	v_fma_f64 v[4:5], v[225:226], s[2:3], v[209:210]
	v_fma_f64 v[6:7], v[231:232], s[2:3], -v[211:212]
	v_add_f64 v[92:93], v[92:93], v[149:150]
	v_add_f64 v[94:95], v[94:95], v[151:152]
	v_add_f64 v[0:1], v[132:133], v[0:1]
	v_add_f64 v[2:3], v[134:135], v[2:3]
	v_add_f64 v[92:93], v[92:93], v[153:154]
	v_add_f64 v[94:95], v[94:95], v[155:156]
	v_add_f64 v[132:133], v[4:5], v[0:1]
	v_add_f64 v[134:135], v[6:7], v[2:3]
	v_add_f64 v[92:93], v[92:93], v[157:158]
	v_add_f64 v[94:95], v[94:95], v[159:160]
	v_add_f64 v[92:93], v[92:93], v[161:162]
	v_add_f64 v[94:95], v[94:95], v[163:164]
	v_add_f64 v[92:93], v[92:93], v[165:166]
	v_add_f64 v[94:95], v[94:95], v[167:168]
	v_add_f64 v[92:93], v[92:93], v[169:170]
	v_add_f64 v[94:95], v[94:95], v[171:172]
	v_add_f64 v[92:93], v[92:93], v[173:174]
	v_add_f64 v[94:95], v[94:95], v[175:176]
	s_and_saveexec_b32 s0, vcc_lo
	s_cbranch_execz .LBB0_11
; %bb.10:
	ds_write_b128 v255, v[92:95]
	ds_write_b128 v255, v[100:103] offset:2080
	ds_write_b128 v255, v[104:107] offset:4160
	;; [unrolled: 1-line block ×12, first 2 shown]
.LBB0_11:
	s_or_b32 exec_lo, exec_lo, s0
	s_waitcnt lgkmcnt(0)
	s_waitcnt_vscnt null, 0x0
	s_barrier
	buffer_gl0_inv
	s_and_saveexec_b32 s1, vcc_lo
	s_cbranch_execz .LBB0_13
; %bb.12:
	v_add_co_u32 v0, s0, s14, v255
	v_add_co_ci_u32_e64 v1, null, s15, 0, s0
	v_add_co_u32 v2, s0, 0x6800, v0
	v_add_co_ci_u32_e64 v3, s0, 0, v1, s0
	global_load_dwordx4 v[136:139], v[2:3], off offset:416
	v_add_co_u32 v2, s0, 0x7000, v0
	v_add_co_ci_u32_e64 v3, s0, 0, v1, s0
	v_add_co_u32 v6, s0, 0x7800, v0
	v_add_co_ci_u32_e64 v7, s0, 0, v1, s0
	s_clause 0x1
	global_load_dwordx4 v[2:5], v[2:3], off offset:448
	global_load_dwordx4 v[140:143], v[6:7], off offset:480
	v_add_co_u32 v6, s0, 0x8000, v0
	v_add_co_ci_u32_e64 v7, s0, 0, v1, s0
	global_load_dwordx4 v[144:147], v[6:7], off offset:512
	v_add_co_u32 v6, s0, 0x8800, v0
	v_add_co_ci_u32_e64 v7, s0, 0, v1, s0
	;; [unrolled: 3-line block ×3, first 2 shown]
	v_add_co_u32 v157, s0, 0x9800, v0
	v_add_co_ci_u32_e64 v158, s0, 0, v1, s0
	s_clause 0x1
	global_load_dwordx4 v[153:156], v[6:7], off offset:576
	global_load_dwordx4 v[157:160], v[157:158], off offset:608
	v_add_co_u32 v6, s0, 0xa000, v0
	v_add_co_ci_u32_e64 v7, s0, 0, v1, s0
	global_load_dwordx4 v[161:164], v[6:7], off offset:640
	v_add_co_u32 v6, s0, 0xa800, v0
	v_add_co_ci_u32_e64 v7, s0, 0, v1, s0
	v_add_co_u32 v169, s0, 0xb000, v0
	v_add_co_ci_u32_e64 v170, s0, 0, v1, s0
	s_clause 0x1
	global_load_dwordx4 v[165:168], v[6:7], off offset:672
	global_load_dwordx4 v[169:172], v[169:170], off offset:704
	v_add_co_u32 v6, s0, 0xb800, v0
	v_add_co_ci_u32_e64 v7, s0, 0, v1, s0
	global_load_dwordx4 v[173:176], v[6:7], off offset:736
	v_add_co_u32 v6, s0, 0xc000, v0
	v_add_co_ci_u32_e64 v7, s0, 0, v1, s0
	v_add_co_u32 v0, s0, 0xc800, v0
	v_add_co_ci_u32_e64 v1, s0, 0, v1, s0
	s_clause 0x1
	global_load_dwordx4 v[177:180], v[6:7], off offset:768
	global_load_dwordx4 v[181:184], v[0:1], off offset:800
	ds_read_b128 v[185:188], v255
	ds_read_b128 v[189:192], v255 offset:2080
	ds_read_b128 v[193:196], v255 offset:4160
	s_waitcnt vmcnt(12) lgkmcnt(2)
	v_mul_f64 v[0:1], v[187:188], v[138:139]
	v_mul_f64 v[6:7], v[185:186], v[138:139]
	s_waitcnt vmcnt(11) lgkmcnt(1)
	v_mul_f64 v[197:198], v[191:192], v[4:5]
	v_mul_f64 v[199:200], v[189:190], v[4:5]
	v_fma_f64 v[4:5], v[185:186], v[136:137], -v[0:1]
	v_fma_f64 v[6:7], v[187:188], v[136:137], v[6:7]
	ds_read_b128 v[136:139], v255 offset:6240
	s_waitcnt vmcnt(10) lgkmcnt(1)
	v_mul_f64 v[201:202], v[195:196], v[142:143]
	v_mul_f64 v[142:143], v[193:194], v[142:143]
	ds_read_b128 v[185:188], v255 offset:8320
	v_fma_f64 v[0:1], v[189:190], v[2:3], -v[197:198]
	v_fma_f64 v[2:3], v[191:192], v[2:3], v[199:200]
	s_waitcnt vmcnt(9) lgkmcnt(1)
	v_mul_f64 v[197:198], v[138:139], v[146:147]
	v_mul_f64 v[146:147], v[136:137], v[146:147]
	v_fma_f64 v[189:190], v[193:194], v[140:141], -v[201:202]
	v_fma_f64 v[191:192], v[195:196], v[140:141], v[142:143]
	ds_read_b128 v[140:143], v255 offset:10400
	s_waitcnt vmcnt(8) lgkmcnt(1)
	v_mul_f64 v[193:194], v[187:188], v[151:152]
	v_mul_f64 v[151:152], v[185:186], v[151:152]
	v_fma_f64 v[136:137], v[136:137], v[144:145], -v[197:198]
	v_fma_f64 v[138:139], v[138:139], v[144:145], v[146:147]
	ds_read_b128 v[144:147], v255 offset:12480
	;; [unrolled: 6-line block ×8, first 2 shown]
	s_waitcnt vmcnt(1) lgkmcnt(1)
	v_mul_f64 v[195:196], v[167:168], v[179:180]
	v_mul_f64 v[179:180], v[165:166], v[179:180]
	v_fma_f64 v[161:162], v[161:162], v[173:174], -v[193:194]
	v_fma_f64 v[163:164], v[163:164], v[173:174], v[175:176]
	s_waitcnt vmcnt(0) lgkmcnt(0)
	v_mul_f64 v[173:174], v[171:172], v[183:184]
	v_mul_f64 v[175:176], v[169:170], v[183:184]
	v_fma_f64 v[165:166], v[165:166], v[177:178], -v[195:196]
	v_fma_f64 v[167:168], v[167:168], v[177:178], v[179:180]
	v_fma_f64 v[169:170], v[169:170], v[181:182], -v[173:174]
	v_fma_f64 v[171:172], v[171:172], v[181:182], v[175:176]
	ds_write_b128 v255, v[4:7]
	ds_write_b128 v255, v[0:3] offset:2080
	ds_write_b128 v255, v[189:192] offset:4160
	;; [unrolled: 1-line block ×12, first 2 shown]
.LBB0_13:
	s_or_b32 exec_lo, exec_lo, s1
	s_waitcnt lgkmcnt(0)
	s_barrier
	buffer_gl0_inv
	s_and_saveexec_b32 s0, vcc_lo
	s_cbranch_execz .LBB0_15
; %bb.14:
	ds_read_b128 v[92:95], v255
	ds_read_b128 v[100:103], v255 offset:2080
	ds_read_b128 v[104:107], v255 offset:4160
	;; [unrolled: 1-line block ×12, first 2 shown]
.LBB0_15:
	s_or_b32 exec_lo, exec_lo, s0
	s_waitcnt lgkmcnt(0)
	v_add_f64 v[161:162], v[102:103], -v[86:87]
	s_mov_b32 s20, 0x4267c47c
	s_mov_b32 s21, 0xbfddbe06
	v_add_f64 v[149:150], v[106:107], -v[90:91]
	s_mov_b32 s2, 0x42a4c3d2
	s_mov_b32 s3, 0xbfea55e2
	v_add_f64 v[157:158], v[100:101], v[84:85]
	v_add_f64 v[209:210], v[102:103], v[86:87]
	s_mov_b32 s0, 0xe00740e9
	s_mov_b32 s1, 0x3fec55a7
	v_add_f64 v[151:152], v[104:105], v[88:89]
	v_add_f64 v[205:206], v[100:101], -v[84:85]
	v_add_f64 v[159:160], v[106:107], v[90:91]
	v_add_f64 v[163:164], v[104:105], -v[88:89]
	v_add_f64 v[155:156], v[114:115], -v[98:99]
	s_mov_b32 s16, 0x66966769
	s_mov_b32 s17, 0xbfefc445
	v_add_f64 v[153:154], v[112:113], v[96:97]
	v_add_f64 v[169:170], v[114:115], v[98:99]
	s_mov_b32 s10, 0xebaa3ed8
	s_mov_b32 s11, 0x3fbedb7d
	v_add_f64 v[171:172], v[112:113], -v[96:97]
	v_mul_f64 v[0:1], v[161:162], s[20:21]
	v_add_f64 v[167:168], v[122:123], -v[110:111]
	s_mov_b32 s22, 0x2ef20147
	v_mul_f64 v[2:3], v[149:150], s[2:3]
	s_mov_b32 s23, 0xbfedeba7
	v_add_f64 v[165:166], v[120:121], v[108:109]
	v_add_f64 v[179:180], v[122:123], v[110:111]
	v_mul_f64 v[207:208], v[209:210], s[0:1]
	s_mov_b32 s18, 0xb2365da1
	s_mov_b32 s19, 0xbfd6b1d8
	v_add_f64 v[181:182], v[120:121], -v[108:109]
	v_add_f64 v[177:178], v[126:127], -v[118:119]
	s_mov_b32 s28, 0x24c2f84
	s_mov_b32 s29, 0x3fe5384d
	;; [unrolled: 1-line block ×4, first 2 shown]
	v_add_f64 v[175:176], v[124:125], v[116:117]
	v_add_f64 v[187:188], v[126:127], v[118:119]
	v_mul_f64 v[201:202], v[169:170], s[10:11]
	s_mov_b32 s24, 0xd0032e0c
	s_mov_b32 s25, 0xbfe7f3cc
	v_add_f64 v[189:190], v[124:125], -v[116:117]
	buffer_store_dword v0, off, s[48:51], 0 offset:48 ; 4-byte Folded Spill
	buffer_store_dword v1, off, s[48:51], 0 offset:52 ; 4-byte Folded Spill
	;; [unrolled: 1-line block ×4, first 2 shown]
	v_mul_f64 v[203:204], v[167:168], s[22:23]
	v_add_f64 v[185:186], v[130:131], -v[134:135]
	v_mul_f64 v[211:212], v[179:180], s[18:19]
	v_fma_f64 v[4:5], v[205:206], s[20:21], v[207:208]
	s_mov_b32 s31, 0xbfcea1e5
	s_mov_b32 s30, 0x4bc48dbf
	v_add_f64 v[183:184], v[128:129], v[132:133]
	v_mul_f64 v[213:214], v[177:178], s[34:35]
	v_add_f64 v[191:192], v[130:131], v[134:135]
	s_mov_b32 s26, 0x93053d00
	s_mov_b32 s27, 0xbfef11f4
	v_add_f64 v[193:194], v[128:129], -v[132:133]
	v_mul_f64 v[199:200], v[161:162], s[2:3]
	v_mul_f64 v[217:218], v[187:188], s[24:25]
	;; [unrolled: 1-line block ×8, first 2 shown]
	s_mov_b32 s39, 0x3fefc445
	s_mov_b32 s38, s16
	v_mul_f64 v[237:238], v[187:188], s[10:11]
	v_mul_f64 v[215:216], v[185:186], s[30:31]
	;; [unrolled: 1-line block ×3, first 2 shown]
	s_mov_b32 s37, 0x3fddbe06
	s_mov_b32 s36, s20
	v_mul_f64 v[239:240], v[149:150], s[30:31]
	v_mul_f64 v[235:236], v[185:186], s[36:37]
	;; [unrolled: 1-line block ×5, first 2 shown]
	s_mov_b32 s41, 0x3fedeba7
	s_mov_b32 s40, s22
	v_mul_f64 v[249:250], v[169:170], s[18:19]
	v_mul_f64 v[243:244], v[155:156], s[40:41]
	v_mul_f64 v[247:248], v[167:168], s[36:37]
	v_fma_f64 v[6:7], v[163:164], s[22:23], v[227:228]
	v_mul_f64 v[173:174], v[179:180], s[0:1]
	v_mul_f64 v[251:252], v[177:178], s[2:3]
	;; [unrolled: 1-line block ×5, first 2 shown]
	v_fma_f64 v[142:143], v[163:164], s[30:31], v[245:246]
	v_fma_f64 v[0:1], v[157:158], s[0:1], -v[0:1]
	v_fma_f64 v[2:3], v[151:152], s[8:9], -v[2:3]
	v_add_f64 v[0:1], v[92:93], v[0:1]
	v_add_f64 v[0:1], v[2:3], v[0:1]
	;; [unrolled: 1-line block ×3, first 2 shown]
	v_mul_f64 v[4:5], v[159:160], s[8:9]
	buffer_store_dword v4, off, s[48:51], 0 offset:64 ; 4-byte Folded Spill
	buffer_store_dword v5, off, s[48:51], 0 offset:68 ; 4-byte Folded Spill
	v_fma_f64 v[4:5], v[163:164], s[2:3], v[4:5]
	v_add_f64 v[2:3], v[4:5], v[2:3]
	v_mul_f64 v[4:5], v[155:156], s[16:17]
	buffer_store_dword v4, off, s[48:51], 0 offset:72 ; 4-byte Folded Spill
	buffer_store_dword v5, off, s[48:51], 0 offset:76 ; 4-byte Folded Spill
	s_waitcnt_vscnt null, 0x0
	s_barrier
	buffer_gl0_inv
	v_fma_f64 v[4:5], v[153:154], s[10:11], -v[4:5]
	v_add_f64 v[0:1], v[4:5], v[0:1]
	v_fma_f64 v[4:5], v[171:172], s[16:17], v[201:202]
	v_add_f64 v[2:3], v[4:5], v[2:3]
	v_fma_f64 v[4:5], v[165:166], s[18:19], -v[203:204]
	v_add_f64 v[0:1], v[4:5], v[0:1]
	v_fma_f64 v[4:5], v[181:182], s[22:23], v[211:212]
	v_add_f64 v[2:3], v[4:5], v[2:3]
	;; [unrolled: 4-line block ×4, first 2 shown]
	v_fma_f64 v[0:1], v[157:158], s[8:9], -v[199:200]
	v_fma_f64 v[2:3], v[151:152], s[18:19], -v[219:220]
	v_add_f64 v[0:1], v[92:93], v[0:1]
	v_add_f64 v[2:3], v[2:3], v[0:1]
	v_mul_f64 v[0:1], v[209:210], s[8:9]
	v_fma_f64 v[4:5], v[205:206], s[2:3], v[0:1]
	v_add_f64 v[4:5], v[94:95], v[4:5]
	v_add_f64 v[4:5], v[6:7], v[4:5]
	v_fma_f64 v[6:7], v[153:154], s[26:27], -v[221:222]
	v_add_f64 v[2:3], v[6:7], v[2:3]
	v_fma_f64 v[6:7], v[171:172], s[30:31], v[231:232]
	v_add_f64 v[4:5], v[6:7], v[4:5]
	v_fma_f64 v[6:7], v[165:166], s[24:25], -v[225:226]
	v_add_f64 v[2:3], v[6:7], v[2:3]
	v_fma_f64 v[6:7], v[181:182], s[28:29], v[233:234]
	;; [unrolled: 4-line block ×4, first 2 shown]
	v_fma_f64 v[6:7], v[151:152], s[26:27], -v[239:240]
	v_add_f64 v[146:147], v[2:3], v[4:5]
	v_mul_f64 v[2:3], v[161:162], s[16:17]
	v_fma_f64 v[4:5], v[157:158], s[10:11], -v[2:3]
	v_add_f64 v[4:5], v[92:93], v[4:5]
	v_add_f64 v[6:7], v[6:7], v[4:5]
	v_mul_f64 v[4:5], v[209:210], s[10:11]
	v_fma_f64 v[140:141], v[205:206], s[16:17], v[4:5]
	v_add_f64 v[140:141], v[94:95], v[140:141]
	v_add_f64 v[140:141], v[142:143], v[140:141]
	v_fma_f64 v[142:143], v[153:154], s[18:19], -v[243:244]
	v_add_f64 v[6:7], v[142:143], v[6:7]
	v_fma_f64 v[142:143], v[171:172], s[40:41], v[249:250]
	v_add_f64 v[140:141], v[142:143], v[140:141]
	v_fma_f64 v[142:143], v[165:166], s[0:1], -v[247:248]
	v_add_f64 v[6:7], v[142:143], v[6:7]
	v_fma_f64 v[142:143], v[181:182], s[36:37], v[173:174]
	;; [unrolled: 4-line block ×4, first 2 shown]
	v_add_f64 v[142:143], v[6:7], v[142:143]
	s_and_saveexec_b32 s33, vcc_lo
	s_cbranch_execz .LBB0_17
; %bb.16:
	v_add_f64 v[6:7], v[94:95], v[102:103]
	v_add_f64 v[100:101], v[92:93], v[100:101]
	v_mul_f64 v[102:103], v[205:206], s[16:17]
	v_add_f64 v[6:7], v[6:7], v[106:107]
	s_clause 0x1
	buffer_load_dword v106, off, s[48:51], 0 offset:48
	buffer_load_dword v107, off, s[48:51], 0 offset:52
	v_add_f64 v[100:101], v[100:101], v[104:105]
	v_add_f64 v[4:5], v[4:5], -v[102:103]
	v_mul_f64 v[102:103], v[157:158], s[10:11]
	v_mul_f64 v[104:105], v[157:158], s[0:1]
	v_add_f64 v[6:7], v[6:7], v[114:115]
	v_add_f64 v[100:101], v[100:101], v[112:113]
	v_mul_f64 v[112:113], v[161:162], s[22:23]
	v_add_f64 v[2:3], v[102:103], v[2:3]
	v_mul_f64 v[102:103], v[205:206], s[2:3]
	v_add_f64 v[6:7], v[6:7], v[122:123]
	v_add_f64 v[122:123], v[94:95], v[4:5]
	;; [unrolled: 1-line block ×3, first 2 shown]
	v_mul_f64 v[4:5], v[163:164], s[36:37]
	v_add_f64 v[0:1], v[0:1], -v[102:103]
	v_mul_f64 v[102:103], v[205:206], s[20:21]
	s_mov_b32 s21, 0x3fea55e2
	s_mov_b32 s20, s2
	v_add_f64 v[6:7], v[6:7], v[126:127]
	v_add_f64 v[100:101], v[100:101], v[124:125]
	;; [unrolled: 1-line block ×3, first 2 shown]
	v_add_f64 v[102:103], v[207:208], -v[102:103]
	v_fma_f64 v[0:1], v[159:160], s[0:1], v[4:5]
	v_fma_f64 v[4:5], v[159:160], s[0:1], -v[4:5]
	v_add_f64 v[6:7], v[6:7], v[130:131]
	v_add_f64 v[100:101], v[100:101], v[128:129]
	;; [unrolled: 1-line block ×3, first 2 shown]
	v_mul_f64 v[134:135], v[193:194], s[38:39]
	v_add_f64 v[100:101], v[100:101], v[132:133]
	v_add_f64 v[6:7], v[6:7], v[118:119]
	v_fma_f64 v[118:119], v[157:158], s[18:19], v[112:113]
	v_add_f64 v[100:101], v[100:101], v[116:117]
	v_fma_f64 v[112:113], v[157:158], s[18:19], -v[112:113]
	v_add_f64 v[6:7], v[6:7], v[110:111]
	v_mul_f64 v[110:111], v[161:162], s[34:35]
	v_add_f64 v[100:101], v[100:101], v[108:109]
	v_mul_f64 v[108:109], v[161:162], s[30:31]
	v_add_f64 v[118:119], v[92:93], v[118:119]
	v_add_f64 v[112:113], v[92:93], v[112:113]
	;; [unrolled: 1-line block ×3, first 2 shown]
	v_mul_f64 v[98:99], v[205:206], s[22:23]
	v_add_f64 v[96:97], v[100:101], v[96:97]
	v_fma_f64 v[114:115], v[157:158], s[26:27], -v[108:109]
	v_fma_f64 v[108:109], v[157:158], s[26:27], v[108:109]
	v_fma_f64 v[116:117], v[157:158], s[24:25], -v[110:111]
	v_fma_f64 v[110:111], v[157:158], s[24:25], v[110:111]
	v_add_f64 v[6:7], v[6:7], v[90:91]
	v_mul_f64 v[90:91], v[205:206], s[34:35]
	v_add_f64 v[88:89], v[96:97], v[88:89]
	v_fma_f64 v[100:101], v[209:210], s[18:19], v[98:99]
	v_fma_f64 v[98:99], v[209:210], s[18:19], -v[98:99]
	v_add_f64 v[114:115], v[92:93], v[114:115]
	v_add_f64 v[108:109], v[92:93], v[108:109]
	;; [unrolled: 1-line block ×5, first 2 shown]
	v_mul_f64 v[6:7], v[205:206], s[30:31]
	v_add_f64 v[84:85], v[88:89], v[84:85]
	v_fma_f64 v[96:97], v[209:210], s[24:25], v[90:91]
	v_fma_f64 v[90:91], v[209:210], s[24:25], -v[90:91]
	v_add_f64 v[98:99], v[94:95], v[98:99]
	v_add_f64 v[100:101], v[94:95], v[100:101]
	v_fma_f64 v[88:89], v[209:210], s[26:27], v[6:7]
	v_fma_f64 v[6:7], v[209:210], s[26:27], -v[6:7]
	v_add_f64 v[96:97], v[94:95], v[96:97]
	v_add_f64 v[120:121], v[94:95], v[90:91]
	;; [unrolled: 1-line block ×6, first 2 shown]
	v_mul_f64 v[88:89], v[149:150], s[36:37]
	v_add_f64 v[4:5], v[4:5], v[6:7]
	v_fma_f64 v[6:7], v[151:152], s[0:1], v[88:89]
	s_waitcnt vmcnt(0)
	v_add_f64 v[104:105], v[104:105], v[106:107]
	v_mul_f64 v[106:107], v[157:158], s[8:9]
	v_mul_f64 v[157:158], v[185:186], s[38:39]
	v_add_f64 v[6:7], v[6:7], v[108:109]
	v_mul_f64 v[108:109], v[153:154], s[10:11]
	v_add_f64 v[102:103], v[92:93], v[104:105]
	v_add_f64 v[106:107], v[106:107], v[199:200]
	;; [unrolled: 1-line block ×4, first 2 shown]
	v_mul_f64 v[92:93], v[171:172], s[34:35]
	v_fma_f64 v[2:3], v[151:152], s[0:1], -v[88:89]
	v_fma_f64 v[94:95], v[169:170], s[24:25], v[92:93]
	v_add_f64 v[2:3], v[2:3], v[114:115]
	v_fma_f64 v[88:89], v[169:170], s[24:25], -v[92:93]
	v_fma_f64 v[92:93], v[183:184], s[10:11], v[157:158]
	v_add_f64 v[0:1], v[94:95], v[0:1]
	v_mul_f64 v[94:95], v[155:156], s[34:35]
	v_add_f64 v[4:5], v[88:89], v[4:5]
	v_fma_f64 v[114:115], v[153:154], s[24:25], -v[94:95]
	v_fma_f64 v[88:89], v[153:154], s[24:25], v[94:95]
	v_add_f64 v[2:3], v[114:115], v[2:3]
	v_mul_f64 v[114:115], v[181:182], s[20:21]
	v_add_f64 v[6:7], v[88:89], v[6:7]
	v_fma_f64 v[126:127], v[179:180], s[8:9], v[114:115]
	v_fma_f64 v[88:89], v[179:180], s[8:9], -v[114:115]
	v_add_f64 v[0:1], v[126:127], v[0:1]
	v_mul_f64 v[126:127], v[167:168], s[20:21]
	v_add_f64 v[4:5], v[88:89], v[4:5]
	v_fma_f64 v[128:129], v[165:166], s[8:9], -v[126:127]
	v_fma_f64 v[88:89], v[165:166], s[8:9], v[126:127]
	v_mul_f64 v[126:127], v[165:166], s[18:19]
	v_add_f64 v[2:3], v[128:129], v[2:3]
	v_mul_f64 v[128:129], v[189:190], s[22:23]
	v_add_f64 v[6:7], v[88:89], v[6:7]
	v_add_f64 v[126:127], v[126:127], v[203:204]
	v_fma_f64 v[130:131], v[187:188], s[18:19], v[128:129]
	v_fma_f64 v[88:89], v[187:188], s[18:19], -v[128:129]
	v_mul_f64 v[128:129], v[189:190], s[34:35]
	v_add_f64 v[0:1], v[130:131], v[0:1]
	v_mul_f64 v[130:131], v[177:178], s[22:23]
	v_add_f64 v[4:5], v[88:89], v[4:5]
	v_add_f64 v[128:129], v[217:218], -v[128:129]
	v_fma_f64 v[88:89], v[175:176], s[18:19], v[130:131]
	v_fma_f64 v[132:133], v[175:176], s[18:19], -v[130:131]
	v_mul_f64 v[130:131], v[175:176], s[8:9]
	v_add_f64 v[88:89], v[88:89], v[6:7]
	v_fma_f64 v[6:7], v[191:192], s[10:11], -v[134:135]
	v_add_f64 v[132:133], v[132:133], v[2:3]
	v_fma_f64 v[2:3], v[191:192], s[10:11], v[134:135]
	v_add_f64 v[130:131], v[130:131], v[251:252]
	v_mul_f64 v[134:135], v[183:184], s[24:25]
	v_add_f64 v[6:7], v[6:7], v[4:5]
	v_add_f64 v[4:5], v[92:93], v[88:89]
	s_clause 0x5
	buffer_load_dword v92, off, s[48:51], 0 offset:64
	buffer_load_dword v93, off, s[48:51], 0 offset:68
	;; [unrolled: 1-line block ×6, first 2 shown]
	v_mul_f64 v[88:89], v[163:164], s[2:3]
	v_add_f64 v[2:3], v[2:3], v[0:1]
	v_fma_f64 v[0:1], v[183:184], s[10:11], -v[157:158]
	v_add_f64 v[134:135], v[134:135], v[253:254]
	v_add_f64 v[0:1], v[0:1], v[132:133]
	v_mul_f64 v[132:133], v[193:194], s[34:35]
	v_add_f64 v[132:133], v[197:198], -v[132:133]
	s_waitcnt vmcnt(4)
	v_add_f64 v[88:89], v[92:93], -v[88:89]
	v_mul_f64 v[92:93], v[151:152], s[8:9]
	s_waitcnt vmcnt(0)
	v_add_f64 v[108:109], v[108:109], v[114:115]
	v_mul_f64 v[114:115], v[181:182], s[22:23]
	v_add_f64 v[88:89], v[88:89], v[90:91]
	v_add_f64 v[92:93], v[92:93], v[94:95]
	v_mul_f64 v[94:95], v[171:172], s[16:17]
	v_add_f64 v[114:115], v[211:212], -v[114:115]
	v_add_f64 v[90:91], v[92:93], v[102:103]
	v_add_f64 v[94:95], v[201:202], -v[94:95]
	v_mul_f64 v[92:93], v[175:176], s[24:25]
	v_mul_f64 v[102:103], v[183:184], s[26:27]
	v_add_f64 v[90:91], v[108:109], v[90:91]
	v_add_f64 v[88:89], v[94:95], v[88:89]
	;; [unrolled: 1-line block ×3, first 2 shown]
	v_mul_f64 v[94:95], v[193:194], s[30:31]
	v_add_f64 v[102:103], v[102:103], v[215:216]
	v_mul_f64 v[108:109], v[153:154], s[26:27]
	v_add_f64 v[90:91], v[126:127], v[90:91]
	v_add_f64 v[88:89], v[114:115], v[88:89]
	v_mul_f64 v[114:115], v[181:182], s[28:29]
	v_add_f64 v[94:95], v[223:224], -v[94:95]
	v_mul_f64 v[126:127], v[165:166], s[24:25]
	v_add_f64 v[108:109], v[108:109], v[221:222]
	v_add_f64 v[92:93], v[92:93], v[90:91]
	;; [unrolled: 1-line block ×3, first 2 shown]
	v_add_f64 v[114:115], v[233:234], -v[114:115]
	v_mul_f64 v[128:129], v[189:190], s[38:39]
	v_add_f64 v[126:127], v[126:127], v[225:226]
	v_add_f64 v[90:91], v[94:95], v[88:89]
	;; [unrolled: 1-line block ×3, first 2 shown]
	v_mul_f64 v[92:93], v[163:164], s[22:23]
	v_mul_f64 v[94:95], v[151:152], s[18:19]
	;; [unrolled: 1-line block ×3, first 2 shown]
	v_add_f64 v[128:129], v[237:238], -v[128:129]
	v_add_f64 v[92:93], v[227:228], -v[92:93]
	v_add_f64 v[94:95], v[94:95], v[219:220]
	v_add_f64 v[102:103], v[231:232], -v[102:103]
	v_add_f64 v[92:93], v[92:93], v[124:125]
	v_add_f64 v[94:95], v[94:95], v[104:105]
	v_mul_f64 v[104:105], v[175:176], s[10:11]
	v_mul_f64 v[124:125], v[181:182], s[36:37]
	v_add_f64 v[92:93], v[102:103], v[92:93]
	v_add_f64 v[94:95], v[108:109], v[94:95]
	;; [unrolled: 1-line block ×3, first 2 shown]
	v_mul_f64 v[102:103], v[193:194], s[36:37]
	v_mul_f64 v[108:109], v[183:184], s[0:1]
	v_add_f64 v[124:125], v[173:174], -v[124:125]
	v_add_f64 v[92:93], v[114:115], v[92:93]
	v_add_f64 v[94:95], v[126:127], v[94:95]
	v_mul_f64 v[114:115], v[153:154], s[18:19]
	v_add_f64 v[102:103], v[241:242], -v[102:103]
	v_add_f64 v[108:109], v[108:109], v[235:236]
	v_mul_f64 v[126:127], v[165:166], s[0:1]
	v_add_f64 v[92:93], v[128:129], v[92:93]
	v_add_f64 v[104:105], v[104:105], v[94:95]
	;; [unrolled: 1-line block ×3, first 2 shown]
	v_mul_f64 v[128:129], v[189:190], s[2:3]
	v_add_f64 v[126:127], v[126:127], v[247:248]
	v_add_f64 v[94:95], v[102:103], v[92:93]
	;; [unrolled: 1-line block ×3, first 2 shown]
	v_mul_f64 v[102:103], v[163:164], s[30:31]
	v_mul_f64 v[104:105], v[151:152], s[26:27]
	;; [unrolled: 1-line block ×3, first 2 shown]
	s_mov_b32 s31, 0x3fcea1e5
	v_add_f64 v[128:129], v[195:196], -v[128:129]
	v_add_f64 v[102:103], v[245:246], -v[102:103]
	v_add_f64 v[104:105], v[104:105], v[239:240]
	v_add_f64 v[108:109], v[249:250], -v[108:109]
	v_add_f64 v[102:103], v[102:103], v[122:123]
	v_add_f64 v[104:105], v[104:105], v[106:107]
	v_mul_f64 v[106:107], v[163:164], s[38:39]
	v_add_f64 v[102:103], v[108:109], v[102:103]
	v_mul_f64 v[108:109], v[171:172], s[2:3]
	v_fma_f64 v[122:123], v[159:160], s[10:11], v[106:107]
	v_fma_f64 v[106:107], v[159:160], s[10:11], -v[106:107]
	v_add_f64 v[104:105], v[114:115], v[104:105]
	v_add_f64 v[102:103], v[124:125], v[102:103]
	v_fma_f64 v[114:115], v[169:170], s[8:9], v[108:109]
	v_add_f64 v[96:97], v[122:123], v[96:97]
	v_mul_f64 v[122:123], v[149:150], s[38:39]
	v_add_f64 v[106:107], v[106:107], v[120:121]
	v_fma_f64 v[108:109], v[169:170], s[8:9], -v[108:109]
	v_add_f64 v[104:105], v[126:127], v[104:105]
	v_mul_f64 v[126:127], v[171:172], s[36:37]
	v_add_f64 v[102:103], v[128:129], v[102:103]
	v_add_f64 v[96:97], v[114:115], v[96:97]
	v_fma_f64 v[120:121], v[151:152], s[10:11], v[122:123]
	v_mul_f64 v[114:115], v[155:156], s[2:3]
	v_add_f64 v[106:107], v[108:109], v[106:107]
	v_fma_f64 v[157:158], v[151:152], s[10:11], -v[122:123]
	v_fma_f64 v[128:129], v[169:170], s[0:1], v[126:127]
	v_fma_f64 v[126:127], v[169:170], s[0:1], -v[126:127]
	v_add_f64 v[104:105], v[130:131], v[104:105]
	v_add_f64 v[110:111], v[120:121], v[110:111]
	v_fma_f64 v[108:109], v[153:154], s[8:9], v[114:115]
	v_fma_f64 v[120:121], v[153:154], s[8:9], -v[114:115]
	v_add_f64 v[116:117], v[157:158], v[116:117]
	v_add_f64 v[108:109], v[108:109], v[110:111]
	v_mul_f64 v[110:111], v[181:182], s[30:31]
	v_add_f64 v[116:117], v[120:121], v[116:117]
	v_fma_f64 v[114:115], v[179:180], s[26:27], v[110:111]
	v_fma_f64 v[110:111], v[179:180], s[26:27], -v[110:111]
	v_add_f64 v[96:97], v[114:115], v[96:97]
	v_mul_f64 v[114:115], v[167:168], s[30:31]
	v_add_f64 v[106:107], v[110:111], v[106:107]
	v_mul_f64 v[110:111], v[189:190], s[36:37]
	v_fma_f64 v[120:121], v[165:166], s[26:27], -v[114:115]
	v_add_f64 v[116:117], v[120:121], v[116:117]
	v_fma_f64 v[120:121], v[187:188], s[0:1], v[110:111]
	v_fma_f64 v[110:111], v[187:188], s[0:1], -v[110:111]
	v_add_f64 v[120:121], v[120:121], v[96:97]
	v_mul_f64 v[96:97], v[177:178], s[36:37]
	v_add_f64 v[106:107], v[110:111], v[106:107]
	v_fma_f64 v[110:111], v[165:166], s[26:27], v[114:115]
	v_fma_f64 v[122:123], v[175:176], s[0:1], -v[96:97]
	v_fma_f64 v[96:97], v[175:176], s[0:1], v[96:97]
	v_add_f64 v[108:109], v[110:111], v[108:109]
	v_mul_f64 v[110:111], v[163:164], s[28:29]
	v_add_f64 v[116:117], v[122:123], v[116:117]
	v_mul_f64 v[122:123], v[149:150], s[28:29]
	v_add_f64 v[108:109], v[96:97], v[108:109]
	v_fma_f64 v[114:115], v[159:160], s[24:25], v[110:111]
	v_fma_f64 v[110:111], v[159:160], s[24:25], -v[110:111]
	v_mul_f64 v[96:97], v[185:186], s[22:23]
	v_fma_f64 v[124:125], v[151:152], s[24:25], v[122:123]
	v_fma_f64 v[122:123], v[151:152], s[24:25], -v[122:123]
	v_add_f64 v[100:101], v[114:115], v[100:101]
	v_mul_f64 v[114:115], v[155:156], s[36:37]
	v_add_f64 v[98:99], v[110:111], v[98:99]
	v_fma_f64 v[149:150], v[183:184], s[18:19], -v[96:97]
	v_add_f64 v[110:111], v[124:125], v[118:119]
	v_add_f64 v[112:113], v[122:123], v[112:113]
	v_mul_f64 v[122:123], v[181:182], s[16:17]
	v_fma_f64 v[118:119], v[153:154], s[0:1], v[114:115]
	v_fma_f64 v[114:115], v[153:154], s[0:1], -v[114:115]
	v_add_f64 v[98:99], v[126:127], v[98:99]
	v_add_f64 v[100:101], v[128:129], v[100:101]
	v_fma_f64 v[124:125], v[179:180], s[10:11], v[122:123]
	v_fma_f64 v[122:123], v[179:180], s[10:11], -v[122:123]
	v_add_f64 v[112:113], v[114:115], v[112:113]
	v_mul_f64 v[114:115], v[189:190], s[30:31]
	v_add_f64 v[110:111], v[118:119], v[110:111]
	v_mul_f64 v[118:119], v[167:168], s[16:17]
	v_add_f64 v[100:101], v[124:125], v[100:101]
	v_add_f64 v[98:99], v[122:123], v[98:99]
	v_mul_f64 v[124:125], v[177:178], s[30:31]
	v_fma_f64 v[122:123], v[187:188], s[26:27], -v[114:115]
	v_fma_f64 v[114:115], v[187:188], s[26:27], v[114:115]
	v_fma_f64 v[126:127], v[165:166], s[10:11], v[118:119]
	v_fma_f64 v[118:119], v[165:166], s[10:11], -v[118:119]
	v_add_f64 v[114:115], v[114:115], v[100:101]
	v_fma_f64 v[100:101], v[183:184], s[18:19], v[96:97]
	v_add_f64 v[110:111], v[126:127], v[110:111]
	v_fma_f64 v[126:127], v[175:176], s[26:27], v[124:125]
	v_add_f64 v[112:113], v[118:119], v[112:113]
	v_add_f64 v[118:119], v[122:123], v[98:99]
	v_mul_f64 v[98:99], v[193:194], s[22:23]
	v_mul_f64 v[122:123], v[193:194], s[20:21]
	v_fma_f64 v[124:125], v[175:176], s[26:27], -v[124:125]
	v_add_f64 v[96:97], v[134:135], v[104:105]
	v_add_f64 v[100:101], v[100:101], v[108:109]
	;; [unrolled: 1-line block ×3, first 2 shown]
	buffer_load_dword v117, off, s[48:51], 0 offset:12 ; 4-byte Folded Reload
	v_add_f64 v[110:111], v[126:127], v[110:111]
	v_mov_b32_e32 v116, 4
	v_fma_f64 v[126:127], v[191:192], s[18:19], v[98:99]
	v_fma_f64 v[128:129], v[191:192], s[18:19], -v[98:99]
	v_mul_f64 v[98:99], v[185:186], s[20:21]
	v_fma_f64 v[130:131], v[191:192], s[8:9], -v[122:123]
	v_fma_f64 v[122:123], v[191:192], s[8:9], v[122:123]
	v_add_f64 v[112:113], v[124:125], v[112:113]
	v_fma_f64 v[151:152], v[183:184], s[8:9], v[98:99]
	v_fma_f64 v[153:154], v[183:184], s[8:9], -v[98:99]
	v_add_f64 v[98:99], v[132:133], v[102:103]
	v_add_f64 v[102:103], v[128:129], v[106:107]
	;; [unrolled: 1-line block ×7, first 2 shown]
	s_waitcnt vmcnt(0)
	v_lshlrev_b32_sdwa v116, v116, v117 dst_sel:DWORD dst_unused:UNUSED_PAD src0_sel:DWORD src1_sel:WORD_0
	ds_write_b128 v116, v[84:87]
	ds_write_b128 v116, v[88:91] offset:16
	ds_write_b128 v116, v[92:95] offset:32
	;; [unrolled: 1-line block ×12, first 2 shown]
.LBB0_17:
	s_or_b32 exec_lo, exec_lo, s33
	s_waitcnt lgkmcnt(0)
	s_barrier
	buffer_gl0_inv
	ds_read_b128 v[0:3], v255 offset:8112
	ds_read_b128 v[4:7], v255 offset:13520
	;; [unrolled: 1-line block ×9, first 2 shown]
	ds_read_b128 v[112:115], v255
	s_mov_b32 s8, 0x134454ff
	s_mov_b32 s9, 0xbfee6f0e
	;; [unrolled: 1-line block ×10, first 2 shown]
	s_waitcnt lgkmcnt(9)
	v_mul_f64 v[116:117], v[30:31], v[0:1]
	s_waitcnt lgkmcnt(8)
	v_mul_f64 v[118:119], v[50:51], v[4:5]
	;; [unrolled: 2-line block ×5, first 2 shown]
	v_mul_f64 v[30:31], v[30:31], v[2:3]
	v_mul_f64 v[50:51], v[50:51], v[6:7]
	;; [unrolled: 1-line block ×4, first 2 shown]
	s_waitcnt lgkmcnt(4)
	v_mul_f64 v[126:127], v[70:71], v[98:99]
	v_mul_f64 v[70:71], v[70:71], v[96:97]
	s_waitcnt lgkmcnt(3)
	v_mul_f64 v[128:129], v[66:67], v[102:103]
	v_mul_f64 v[66:67], v[66:67], v[100:101]
	s_waitcnt lgkmcnt(2)
	v_mul_f64 v[130:131], v[62:63], v[106:107]
	s_waitcnt lgkmcnt(1)
	v_mul_f64 v[132:133], v[58:59], v[108:109]
	v_mul_f64 v[62:63], v[62:63], v[104:105]
	;; [unrolled: 1-line block ×4, first 2 shown]
	s_mov_b32 s18, 0x9b97f4a8
	s_mov_b32 s19, 0x3fe9e377
	;; [unrolled: 1-line block ×4, first 2 shown]
	v_fma_f64 v[2:3], v[28:29], v[2:3], -v[116:117]
	v_fma_f64 v[6:7], v[48:49], v[6:7], -v[118:119]
	;; [unrolled: 1-line block ×4, first 2 shown]
	s_mov_b32 s20, s0
	v_fma_f64 v[0:1], v[28:29], v[0:1], v[30:31]
	v_fma_f64 v[4:5], v[48:49], v[4:5], v[50:51]
	;; [unrolled: 1-line block ×4, first 2 shown]
	v_fma_f64 v[50:51], v[20:21], v[94:95], -v[124:125]
	v_fma_f64 v[96:97], v[68:69], v[96:97], v[126:127]
	v_fma_f64 v[68:69], v[68:69], v[98:99], -v[70:71]
	v_fma_f64 v[28:29], v[64:65], v[100:101], v[128:129]
	;; [unrolled: 2-line block ×3, first 2 shown]
	v_fma_f64 v[66:67], v[56:57], v[110:111], -v[132:133]
	v_fma_f64 v[60:61], v[60:61], v[106:107], -v[62:63]
	v_fma_f64 v[48:49], v[56:57], v[108:109], v[58:59]
	v_fma_f64 v[20:21], v[20:21], v[92:93], v[22:23]
	s_mov_b32 s22, s18
	s_waitcnt lgkmcnt(0)
	s_barrier
	buffer_gl0_inv
	v_add_f64 v[124:125], v[2:3], -v[6:7]
	v_add_f64 v[52:53], v[6:7], v[86:87]
	v_add_f64 v[54:55], v[2:3], v[90:91]
	v_add_f64 v[122:123], v[2:3], -v[90:91]
	v_add_f64 v[126:127], v[90:91], -v[86:87]
	;; [unrolled: 1-line block ×3, first 2 shown]
	v_add_f64 v[88:89], v[4:5], v[44:45]
	v_add_f64 v[92:93], v[0:1], v[46:47]
	v_add_f64 v[94:95], v[0:1], -v[46:47]
	v_add_f64 v[98:99], v[4:5], -v[44:45]
	v_add_f64 v[22:23], v[112:113], v[96:97]
	v_add_f64 v[70:71], v[96:97], -v[28:29]
	v_add_f64 v[130:131], v[86:87], -v[90:91]
	v_add_f64 v[56:57], v[28:29], v[64:65]
	v_add_f64 v[120:121], v[68:69], v[66:67]
	;; [unrolled: 1-line block ×3, first 2 shown]
	v_add_f64 v[84:85], v[48:49], -v[64:65]
	v_add_f64 v[100:101], v[96:97], v[48:49]
	v_add_f64 v[132:133], v[6:7], -v[86:87]
	v_add_f64 v[58:59], v[68:69], -v[66:67]
	;; [unrolled: 1-line block ×5, first 2 shown]
	v_fma_f64 v[52:53], v[52:53], -0.5, v[50:51]
	v_fma_f64 v[54:55], v[54:55], -0.5, v[50:51]
	v_add_f64 v[106:107], v[114:115], v[68:69]
	v_add_f64 v[96:97], v[96:97], -v[48:49]
	v_add_f64 v[110:111], v[28:29], -v[64:65]
	v_fma_f64 v[88:89], v[88:89], -0.5, v[20:21]
	v_fma_f64 v[92:93], v[92:93], -0.5, v[20:21]
	v_add_f64 v[20:21], v[20:21], v[0:1]
	v_add_f64 v[153:154], v[0:1], -v[4:5]
	v_add_f64 v[155:156], v[46:47], -v[44:45]
	;; [unrolled: 1-line block ×4, first 2 shown]
	v_add_f64 v[2:3], v[50:51], v[2:3]
	v_fma_f64 v[50:51], v[56:57], -0.5, v[112:113]
	v_add_f64 v[22:23], v[22:23], v[28:29]
	v_add_f64 v[56:57], v[70:71], v[84:85]
	v_fma_f64 v[28:29], v[100:101], -0.5, v[112:113]
	v_fma_f64 v[70:71], v[108:109], -0.5, v[114:115]
	;; [unrolled: 1-line block ×3, first 2 shown]
	v_add_f64 v[100:101], v[124:125], v[126:127]
	v_add_f64 v[108:109], v[128:129], v[130:131]
	v_add_f64 v[116:117], v[68:69], -v[30:31]
	v_fma_f64 v[149:150], v[94:95], s[2:3], v[52:53]
	v_fma_f64 v[151:152], v[98:99], s[8:9], v[54:55]
	;; [unrolled: 1-line block ×4, first 2 shown]
	v_add_f64 v[118:119], v[66:67], -v[60:61]
	v_fma_f64 v[112:113], v[122:123], s[8:9], v[88:89]
	v_fma_f64 v[88:89], v[122:123], s[2:3], v[88:89]
	;; [unrolled: 1-line block ×4, first 2 shown]
	v_add_f64 v[68:69], v[30:31], -v[68:69]
	v_add_f64 v[134:135], v[60:61], -v[66:67]
	v_add_f64 v[30:31], v[106:107], v[30:31]
	v_add_f64 v[4:5], v[20:21], v[4:5]
	;; [unrolled: 1-line block ×5, first 2 shown]
	v_fma_f64 v[6:7], v[58:59], s[8:9], v[50:51]
	v_fma_f64 v[50:51], v[58:59], s[2:3], v[50:51]
	v_add_f64 v[22:23], v[22:23], v[64:65]
	v_fma_f64 v[120:121], v[98:99], s[16:17], v[149:150]
	v_fma_f64 v[124:125], v[94:95], s[16:17], v[151:152]
	;; [unrolled: 1-line block ×4, first 2 shown]
	v_add_f64 v[94:95], v[102:103], v[104:105]
	v_fma_f64 v[98:99], v[62:63], s[2:3], v[28:29]
	v_fma_f64 v[28:29], v[62:63], s[8:9], v[28:29]
	;; [unrolled: 1-line block ×10, first 2 shown]
	v_add_f64 v[68:69], v[68:69], v[134:135]
	v_add_f64 v[30:31], v[30:31], v[60:61]
	;; [unrolled: 1-line block ×4, first 2 shown]
	v_fma_f64 v[6:7], v[62:63], s[10:11], v[6:7]
	v_fma_f64 v[44:45], v[62:63], s[16:17], v[50:51]
	v_add_f64 v[48:49], v[22:23], v[48:49]
	v_fma_f64 v[114:115], v[100:101], s[0:1], v[120:121]
	v_fma_f64 v[120:121], v[108:109], s[0:1], v[124:125]
	;; [unrolled: 1-line block ×4, first 2 shown]
	v_add_f64 v[100:101], v[116:117], v[118:119]
	v_fma_f64 v[50:51], v[58:59], s[10:11], v[98:99]
	v_fma_f64 v[28:29], v[58:59], s[16:17], v[28:29]
	;; [unrolled: 1-line block ×10, first 2 shown]
	v_add_f64 v[30:31], v[30:31], v[66:67]
	v_add_f64 v[4:5], v[4:5], v[46:47]
	;; [unrolled: 1-line block ×3, first 2 shown]
	v_fma_f64 v[6:7], v[56:57], s[0:1], v[6:7]
	v_fma_f64 v[46:47], v[56:57], s[0:1], v[44:45]
	v_mul_f64 v[86:87], v[114:115], s[10:11]
	v_mul_f64 v[88:89], v[120:121], s[8:9]
	;; [unrolled: 1-line block ×8, first 2 shown]
	v_fma_f64 v[50:51], v[94:95], s[0:1], v[50:51]
	v_fma_f64 v[56:57], v[94:95], s[0:1], v[28:29]
	;; [unrolled: 1-line block ×6, first 2 shown]
	v_add_f64 v[28:29], v[48:49], -v[4:5]
	v_add_f64 v[22:23], v[30:31], v[2:3]
	v_add_f64 v[30:31], v[30:31], -v[2:3]
	v_fma_f64 v[44:45], v[70:71], s[18:19], v[86:87]
	v_fma_f64 v[60:61], v[84:85], s[0:1], v[88:89]
	;; [unrolled: 1-line block ×8, first 2 shown]
	v_add_f64 v[20:21], v[48:49], v[4:5]
	v_add_f64 v[84:85], v[6:7], v[44:45]
	v_add_f64 v[68:69], v[50:51], v[60:61]
	v_add_f64 v[64:65], v[56:57], v[88:89]
	v_add_f64 v[52:53], v[46:47], v[92:93]
	v_add_f64 v[86:87], v[58:59], v[96:97]
	v_add_f64 v[70:71], v[62:63], v[98:99]
	v_add_f64 v[66:67], v[94:95], v[0:1]
	v_add_f64 v[54:55], v[90:91], v[100:101]
	v_add_f64 v[44:45], v[6:7], -v[44:45]
	v_add_f64 v[48:49], v[50:51], -v[60:61]
	;; [unrolled: 1-line block ×8, first 2 shown]
	ds_write_b128 v148, v[20:23]
	ds_write_b128 v148, v[28:31] offset:1040
	ds_write_b128 v148, v[84:87] offset:208
	;; [unrolled: 1-line block ×9, first 2 shown]
	s_waitcnt lgkmcnt(0)
	s_barrier
	buffer_gl0_inv
	s_and_saveexec_b32 s0, vcc_lo
	s_cbranch_execz .LBB0_19
; %bb.18:
	ds_read_b128 v[20:23], v255
	ds_read_b128 v[84:87], v255 offset:2080
	ds_read_b128 v[68:71], v255 offset:4160
	;; [unrolled: 1-line block ×12, first 2 shown]
.LBB0_19:
	s_or_b32 exec_lo, exec_lo, s0
	s_and_saveexec_b32 s33, vcc_lo
	s_cbranch_execz .LBB0_21
; %bb.20:
	s_clause 0x7
	buffer_load_dword v124, off, s[48:51], 0 offset:16
	buffer_load_dword v125, off, s[48:51], 0 offset:20
	;; [unrolled: 1-line block ×8, first 2 shown]
	s_waitcnt lgkmcnt(11)
	v_mul_f64 v[0:1], v[38:39], v[86:87]
	s_waitcnt lgkmcnt(0)
	v_mul_f64 v[2:3], v[82:83], v[138:139]
	v_mul_f64 v[4:5], v[38:39], v[84:85]
	;; [unrolled: 1-line block ×9, first 2 shown]
	s_mov_b32 s22, 0x4bc48dbf
	v_mul_f64 v[102:103], v[18:19], v[58:59]
	s_mov_b32 s23, 0xbfcea1e5
	s_mov_b32 s26, 0x24c2f84
	;; [unrolled: 1-line block ×10, first 2 shown]
	v_fma_f64 v[78:79], v[36:37], v[84:85], v[0:1]
	v_fma_f64 v[34:35], v[80:81], v[136:137], v[2:3]
	v_fma_f64 v[82:83], v[36:37], v[86:87], -v[4:5]
	v_fma_f64 v[36:37], v[80:81], v[138:139], -v[6:7]
	v_mul_f64 v[0:1], v[14:15], v[28:29]
	v_mul_f64 v[80:81], v[26:27], v[66:67]
	;; [unrolled: 1-line block ×4, first 2 shown]
	v_fma_f64 v[74:75], v[32:33], v[68:69], v[38:39]
	v_fma_f64 v[14:15], v[76:77], v[144:145], v[88:89]
	v_mul_f64 v[2:3], v[18:19], v[56:57]
	v_fma_f64 v[70:71], v[32:33], v[70:71], -v[94:95]
	v_fma_f64 v[18:19], v[76:77], v[146:147], -v[98:99]
	v_mul_f64 v[4:5], v[10:11], v[54:55]
	v_mul_f64 v[6:7], v[42:43], v[62:63]
	;; [unrolled: 1-line block ×4, first 2 shown]
	s_mov_b32 s9, 0x3fefc445
	s_mov_b32 s19, 0xbfe7f3cc
	;; [unrolled: 1-line block ×3, first 2 shown]
	v_fma_f64 v[98:99], v[12:13], v[28:29], v[100:101]
	v_fma_f64 v[56:57], v[16:17], v[56:57], v[102:103]
	s_mov_b32 s0, 0xebaa3ed8
	v_add_f64 v[26:27], v[78:79], -v[34:35]
	v_add_f64 v[32:33], v[78:79], v[34:35]
	v_add_f64 v[68:69], v[82:83], -v[36:37]
	v_add_f64 v[38:39], v[82:83], v[36:37]
	v_fma_f64 v[76:77], v[24:25], v[64:65], v[80:81]
	v_fma_f64 v[10:11], v[72:73], v[140:141], v[84:85]
	v_fma_f64 v[66:67], v[24:25], v[66:67], -v[86:87]
	v_fma_f64 v[24:25], v[72:73], v[142:143], -v[104:105]
	v_add_f64 v[64:65], v[74:75], -v[14:15]
	v_fma_f64 v[102:103], v[12:13], v[30:31], -v[0:1]
	s_mov_b32 s30, 0x42a4c3d2
	v_add_f64 v[42:43], v[70:71], -v[18:19]
	v_fma_f64 v[104:105], v[8:9], v[52:53], v[4:5]
	v_fma_f64 v[52:53], v[40:41], v[60:61], v[6:7]
	v_fma_f64 v[106:107], v[8:9], v[54:55], -v[88:89]
	v_fma_f64 v[8:9], v[40:41], v[62:63], -v[94:95]
	v_add_f64 v[60:61], v[70:71], v[18:19]
	v_add_f64 v[54:55], v[74:75], v[14:15]
	s_mov_b32 s1, 0x3fbedb7d
	s_mov_b32 s31, 0x3fea55e2
	;; [unrolled: 1-line block ×4, first 2 shown]
	v_mul_f64 v[72:73], v[26:27], s[22:23]
	v_mul_f64 v[110:111], v[26:27], s[26:27]
	;; [unrolled: 1-line block ×4, first 2 shown]
	v_fma_f64 v[58:59], v[16:17], v[58:59], -v[2:3]
	v_add_f64 v[86:87], v[76:77], -v[10:11]
	v_add_f64 v[30:31], v[76:77], v[10:11]
	v_add_f64 v[88:89], v[66:67], -v[24:25]
	v_mul_f64 v[4:5], v[64:65], s[28:29]
	v_add_f64 v[28:29], v[66:67], v[24:25]
	v_mul_f64 v[114:115], v[64:65], s[8:9]
	v_mul_f64 v[6:7], v[42:43], s[28:29]
	;; [unrolled: 1-line block ×3, first 2 shown]
	s_mov_b32 s20, 0x2ef20147
	s_mov_b32 s24, 0x1ea71119
	v_add_f64 v[12:13], v[106:107], v[8:9]
	s_mov_b32 s21, 0xbfedeba7
	s_mov_b32 s25, 0x3fe22d96
	;; [unrolled: 1-line block ×3, first 2 shown]
	v_add_f64 v[16:17], v[104:105], v[52:53]
	s_mov_b32 s38, s22
	s_mov_b32 s2, 0xb2365da1
	v_fma_f64 v[40:41], v[38:39], s[16:17], v[72:73]
	v_fma_f64 v[118:119], v[38:39], s[18:19], v[110:111]
	;; [unrolled: 1-line block ×3, first 2 shown]
	v_fma_f64 v[120:121], v[32:33], s[18:19], -v[112:113]
	v_fma_f64 v[110:111], v[38:39], s[18:19], -v[110:111]
	v_mul_f64 v[0:1], v[86:87], s[26:27]
	s_mov_b32 s3, 0xbfd6b1d8
	v_mul_f64 v[2:3], v[88:89], s[26:27]
	v_fma_f64 v[84:85], v[60:61], s[10:11], v[4:5]
	v_fma_f64 v[4:5], v[60:61], s[10:11], -v[4:5]
	v_fma_f64 v[134:135], v[60:61], s[0:1], v[114:115]
	v_mul_f64 v[152:153], v[26:27], s[20:21]
	v_fma_f64 v[136:137], v[54:55], s[0:1], -v[116:117]
	v_fma_f64 v[112:113], v[32:33], s[18:19], v[112:113]
	v_fma_f64 v[114:115], v[60:61], s[0:1], -v[114:115]
	s_mov_b32 s41, 0x3fe5384d
	s_mov_b32 s40, s26
	v_mul_f64 v[154:155], v[68:69], s[20:21]
	v_fma_f64 v[116:117], v[54:55], s[0:1], v[116:117]
	s_mov_b32 s37, 0xbfefc445
	s_mov_b32 s36, s8
	v_add_f64 v[82:83], v[22:23], v[82:83]
	v_add_f64 v[40:41], v[22:23], v[40:41]
	v_add_f64 v[118:119], v[22:23], v[118:119]
	v_add_f64 v[122:123], v[20:21], v[62:63]
	v_add_f64 v[62:63], v[102:103], -v[58:59]
	v_add_f64 v[120:121], v[20:21], v[120:121]
	v_add_f64 v[110:111], v[22:23], v[110:111]
	;; [unrolled: 1-line block ×3, first 2 shown]
	v_fma_f64 v[132:133], v[30:31], s[18:19], -v[2:3]
	v_fma_f64 v[2:3], v[30:31], s[18:19], v[2:3]
	s_mov_b32 s43, 0x3fedeba7
	s_mov_b32 s42, s20
	v_add_f64 v[112:113], v[20:21], v[112:113]
	v_fma_f64 v[166:167], v[32:33], s[2:3], -v[154:155]
	v_fma_f64 v[154:155], v[32:33], s[2:3], v[154:155]
	v_add_f64 v[70:71], v[82:83], v[70:71]
	v_add_f64 v[40:41], v[84:85], v[40:41]
	;; [unrolled: 1-line block ×3, first 2 shown]
	v_mul_f64 v[138:139], v[62:63], s[20:21]
	v_add_f64 v[120:121], v[136:137], v[120:121]
	v_add_f64 v[110:111], v[114:115], v[110:111]
	v_mul_f64 v[136:137], v[62:63], s[28:29]
	v_mul_f64 v[114:115], v[86:87], s[28:29]
	v_add_f64 v[74:75], v[78:79], v[74:75]
	v_add_f64 v[112:113], v[116:117], v[112:113]
	v_add_f64 v[166:167], v[20:21], v[166:167]
	v_add_f64 v[154:155], v[20:21], v[154:155]
	v_add_f64 v[66:67], v[70:71], v[66:67]
	v_add_f64 v[70:71], v[74:75], v[76:77]
	v_add_f64 v[66:67], v[66:67], v[106:107]
	v_add_f64 v[70:71], v[70:71], v[104:105]
	v_add_f64 v[66:67], v[66:67], v[102:103]
	v_add_f64 v[70:71], v[70:71], v[98:99]
	s_waitcnt vmcnt(4)
	v_mul_f64 v[90:91], v[126:127], v[46:47]
	s_waitcnt vmcnt(0)
	v_mul_f64 v[92:93], v[130:131], v[50:51]
	v_mul_f64 v[108:109], v[130:131], v[48:49]
	;; [unrolled: 1-line block ×4, first 2 shown]
	v_fma_f64 v[130:131], v[28:29], s[18:19], v[0:1]
	v_fma_f64 v[0:1], v[28:29], s[18:19], -v[0:1]
	v_fma_f64 v[94:95], v[124:125], v[44:45], v[90:91]
	v_fma_f64 v[90:91], v[128:129], v[48:49], v[92:93]
	v_fma_f64 v[48:49], v[38:39], s[16:17], -v[72:73]
	v_fma_f64 v[44:45], v[32:33], s[16:17], -v[80:81]
	v_add_f64 v[72:73], v[104:105], -v[52:53]
	v_add_f64 v[80:81], v[106:107], -v[8:9]
	v_fma_f64 v[92:93], v[54:55], s[10:11], -v[6:7]
	v_fma_f64 v[6:7], v[54:55], s[10:11], v[6:7]
	v_fma_f64 v[100:101], v[124:125], v[46:47], -v[96:97]
	v_fma_f64 v[96:97], v[128:129], v[50:51], -v[108:109]
	v_add_f64 v[50:51], v[98:99], -v[56:57]
	v_mul_f64 v[128:129], v[88:89], s[34:35]
	v_add_f64 v[46:47], v[102:103], v[58:59]
	v_fma_f64 v[148:149], v[28:29], s[24:25], v[126:127]
	v_add_f64 v[130:131], v[130:131], v[40:41]
	v_fma_f64 v[126:127], v[28:29], s[24:25], -v[126:127]
	v_add_f64 v[70:71], v[70:71], v[94:95]
	v_add_f64 v[84:85], v[94:95], -v[90:91]
	v_add_f64 v[48:49], v[22:23], v[48:49]
	v_add_f64 v[44:45], v[20:21], v[44:45]
	v_mul_f64 v[108:109], v[72:73], s[30:31]
	v_mul_f64 v[124:125], v[80:81], s[30:31]
	;; [unrolled: 1-line block ×3, first 2 shown]
	v_add_f64 v[6:7], v[6:7], v[122:123]
	v_add_f64 v[40:41], v[94:95], v[90:91]
	v_mul_f64 v[142:143], v[80:81], s[38:39]
	v_mul_f64 v[122:123], v[50:51], s[20:21]
	v_fma_f64 v[150:151], v[30:31], s[24:25], -v[128:129]
	v_mul_f64 v[134:135], v[50:51], s[28:29]
	v_add_f64 v[118:119], v[148:149], v[118:119]
	v_add_f64 v[66:67], v[66:67], v[100:101]
	;; [unrolled: 1-line block ×3, first 2 shown]
	v_mul_f64 v[126:127], v[68:69], s[36:37]
	v_add_f64 v[70:71], v[70:71], v[90:91]
	v_add_f64 v[4:5], v[4:5], v[48:49]
	;; [unrolled: 1-line block ×3, first 2 shown]
	v_add_f64 v[92:93], v[100:101], -v[96:97]
	v_fma_f64 v[144:145], v[12:13], s[24:25], v[108:109]
	v_fma_f64 v[108:109], v[12:13], s[24:25], -v[108:109]
	v_add_f64 v[48:49], v[98:99], v[56:57]
	v_fma_f64 v[146:147], v[16:17], s[24:25], -v[124:125]
	v_fma_f64 v[124:125], v[16:17], s[24:25], v[124:125]
	v_add_f64 v[2:3], v[2:3], v[6:7]
	v_fma_f64 v[156:157], v[46:47], s[2:3], v[122:123]
	v_fma_f64 v[122:123], v[46:47], s[2:3], -v[122:123]
	v_fma_f64 v[160:161], v[12:13], s[16:17], v[140:141]
	v_add_f64 v[120:121], v[150:151], v[120:121]
	v_fma_f64 v[150:151], v[38:39], s[2:3], v[152:153]
	v_fma_f64 v[152:153], v[38:39], s[2:3], -v[152:153]
	v_fma_f64 v[162:163], v[16:17], s[16:17], -v[142:143]
	;; [unrolled: 1-line block ×3, first 2 shown]
	v_fma_f64 v[142:143], v[16:17], s[16:17], v[142:143]
	v_add_f64 v[66:67], v[66:67], v[96:97]
	v_add_f64 v[56:57], v[70:71], v[56:57]
	;; [unrolled: 1-line block ×5, first 2 shown]
	v_mul_f64 v[4:5], v[84:85], s[8:9]
	v_mul_f64 v[6:7], v[92:93], s[8:9]
	v_fma_f64 v[158:159], v[48:49], s[2:3], -v[138:139]
	v_fma_f64 v[138:139], v[48:49], s[2:3], v[138:139]
	v_add_f64 v[130:131], v[144:145], v[130:131]
	v_add_f64 v[2:3], v[124:125], v[2:3]
	v_mul_f64 v[144:145], v[64:65], s[40:41]
	v_fma_f64 v[170:171], v[48:49], s[10:11], -v[136:137]
	v_add_f64 v[118:119], v[160:161], v[118:119]
	v_mul_f64 v[96:97], v[72:73], s[40:41]
	v_add_f64 v[150:151], v[22:23], v[150:151]
	v_add_f64 v[152:153], v[22:23], v[152:153]
	;; [unrolled: 1-line block ×4, first 2 shown]
	v_fma_f64 v[136:137], v[48:49], s[10:11], v[136:137]
	v_add_f64 v[58:59], v[66:67], v[58:59]
	v_mul_f64 v[124:125], v[92:93], s[20:21]
	v_add_f64 v[52:53], v[56:57], v[52:53]
	v_add_f64 v[0:1], v[108:109], v[0:1]
	;; [unrolled: 1-line block ×3, first 2 shown]
	v_mul_f64 v[146:147], v[42:43], s[40:41]
	v_fma_f64 v[148:149], v[44:45], s[0:1], v[4:5]
	v_fma_f64 v[164:165], v[40:41], s[0:1], -v[6:7]
	v_fma_f64 v[4:5], v[44:45], s[0:1], -v[4:5]
	v_fma_f64 v[168:169], v[40:41], s[0:1], v[6:7]
	v_fma_f64 v[6:7], v[46:47], s[10:11], v[134:135]
	v_add_f64 v[138:139], v[138:139], v[2:3]
	v_fma_f64 v[160:161], v[60:61], s[18:19], v[144:145]
	v_add_f64 v[130:131], v[156:157], v[130:131]
	v_mul_f64 v[156:157], v[26:27], s[36:37]
	v_fma_f64 v[144:145], v[60:61], s[18:19], -v[144:145]
	v_mul_f64 v[108:109], v[84:85], s[20:21]
	v_add_f64 v[120:121], v[170:171], v[120:121]
	v_mul_f64 v[170:171], v[50:51], s[38:39]
	v_add_f64 v[8:9], v[58:59], v[8:9]
	v_fma_f64 v[174:175], v[40:41], s[2:3], -v[124:125]
	v_add_f64 v[10:11], v[52:53], v[10:11]
	v_fma_f64 v[124:125], v[40:41], s[2:3], v[124:125]
	v_add_f64 v[122:123], v[122:123], v[0:1]
	v_add_f64 v[132:133], v[158:159], v[132:133]
	v_mul_f64 v[158:159], v[88:89], s[28:29]
	v_fma_f64 v[172:173], v[54:55], s[18:19], -v[146:147]
	v_fma_f64 v[146:147], v[54:55], s[18:19], v[146:147]
	v_add_f64 v[118:119], v[6:7], v[118:119]
	v_add_f64 v[140:141], v[160:161], v[150:151]
	v_add_f64 v[2:3], v[148:149], v[130:131]
	v_fma_f64 v[110:111], v[38:39], s[0:1], -v[156:157]
	v_add_f64 v[78:79], v[144:145], v[152:153]
	v_fma_f64 v[130:131], v[38:39], s[0:1], v[156:157]
	v_mul_f64 v[148:149], v[80:81], s[36:37]
	v_fma_f64 v[162:163], v[44:45], s[2:3], v[108:109]
	v_fma_f64 v[108:109], v[44:45], s[2:3], -v[108:109]
	v_add_f64 v[8:9], v[8:9], v[24:25]
	v_add_f64 v[6:7], v[4:5], v[122:123]
	v_fma_f64 v[122:123], v[30:31], s[24:25], v[128:129]
	v_add_f64 v[0:1], v[164:165], v[132:133]
	v_add_f64 v[4:5], v[168:169], v[138:139]
	v_mul_f64 v[132:133], v[72:73], s[36:37]
	v_fma_f64 v[138:139], v[28:29], s[10:11], v[114:115]
	v_fma_f64 v[168:169], v[32:33], s[0:1], -v[126:127]
	v_mul_f64 v[128:129], v[64:65], s[22:23]
	v_fma_f64 v[114:115], v[28:29], s[10:11], -v[114:115]
	v_fma_f64 v[150:151], v[30:31], s[10:11], -v[158:159]
	v_add_f64 v[160:161], v[172:173], v[166:167]
	v_fma_f64 v[116:117], v[30:31], s[10:11], v[158:159]
	v_add_f64 v[144:145], v[146:147], v[154:155]
	v_mul_f64 v[164:165], v[86:87], s[42:43]
	v_add_f64 v[130:131], v[22:23], v[130:131]
	v_fma_f64 v[176:177], v[16:17], s[0:1], -v[148:149]
	v_mul_f64 v[146:147], v[72:73], s[28:29]
	v_mul_f64 v[158:159], v[84:85], s[30:31]
	v_add_f64 v[112:113], v[122:123], v[112:113]
	v_fma_f64 v[122:123], v[46:47], s[10:11], -v[134:135]
	v_mul_f64 v[134:135], v[42:43], s[22:23]
	v_fma_f64 v[172:173], v[12:13], s[0:1], v[132:133]
	v_add_f64 v[138:139], v[138:139], v[140:141]
	v_add_f64 v[156:157], v[20:21], v[168:169]
	v_fma_f64 v[76:77], v[60:61], s[16:17], -v[128:129]
	v_add_f64 v[74:75], v[114:115], v[78:79]
	v_add_f64 v[78:79], v[22:23], v[110:111]
	;; [unrolled: 1-line block ×3, first 2 shown]
	v_fma_f64 v[160:161], v[46:47], s[16:17], v[170:171]
	v_fma_f64 v[166:167], v[60:61], s[16:17], v[128:129]
	v_mul_f64 v[140:141], v[62:63], s[38:39]
	v_fma_f64 v[132:133], v[12:13], s[0:1], -v[132:133]
	v_fma_f64 v[110:111], v[16:17], s[0:1], v[148:149]
	v_add_f64 v[114:115], v[116:117], v[144:145]
	v_fma_f64 v[104:105], v[28:29], s[2:3], -v[164:165]
	v_fma_f64 v[152:153], v[28:29], s[2:3], v[164:165]
	v_fma_f64 v[128:129], v[12:13], s[10:11], v[146:147]
	v_fma_f64 v[146:147], v[12:13], s[10:11], -v[146:147]
	v_mul_f64 v[116:117], v[50:51], s[34:35]
	v_add_f64 v[112:113], v[142:143], v[112:113]
	v_mul_f64 v[142:143], v[88:89], s[42:43]
	v_fma_f64 v[154:155], v[54:55], s[16:17], -v[134:135]
	v_add_f64 v[82:83], v[122:123], v[82:83]
	v_add_f64 v[138:139], v[172:173], v[138:139]
	v_mul_f64 v[122:123], v[80:81], s[28:29]
	v_add_f64 v[76:77], v[76:77], v[78:79]
	v_add_f64 v[150:151], v[176:177], v[150:151]
	;; [unrolled: 1-line block ×3, first 2 shown]
	v_mul_f64 v[166:167], v[92:93], s[30:31]
	v_fma_f64 v[168:169], v[48:49], s[16:17], -v[140:141]
	v_add_f64 v[74:75], v[132:133], v[74:75]
	v_fma_f64 v[78:79], v[48:49], s[16:17], v[140:141]
	v_add_f64 v[106:107], v[110:111], v[114:115]
	v_fma_f64 v[114:115], v[32:33], s[0:1], v[126:127]
	v_mul_f64 v[132:133], v[62:63], s[34:35]
	v_mul_f64 v[110:111], v[84:85], s[26:27]
	v_fma_f64 v[126:127], v[46:47], s[24:25], v[116:117]
	v_fma_f64 v[116:117], v[46:47], s[24:25], -v[116:117]
	v_add_f64 v[112:113], v[136:137], v[112:113]
	v_fma_f64 v[144:145], v[30:31], s[2:3], -v[142:143]
	v_add_f64 v[148:149], v[154:155], v[156:157]
	v_mul_f64 v[156:157], v[84:85], s[28:29]
	v_add_f64 v[138:139], v[160:161], v[138:139]
	v_mul_f64 v[160:161], v[92:93], s[28:29]
	s_mov_b32 s29, 0xbfddbe06
	v_fma_f64 v[154:155], v[46:47], s[16:17], -v[170:171]
	v_fma_f64 v[140:141], v[16:17], s[10:11], -v[122:123]
	v_mul_f64 v[98:99], v[68:69], s[28:29]
	v_mul_f64 v[68:69], v[68:69], s[34:35]
	v_add_f64 v[76:77], v[104:105], v[76:77]
	v_add_f64 v[130:131], v[152:153], v[130:131]
	v_fma_f64 v[152:153], v[40:41], s[24:25], -v[166:167]
	v_fma_f64 v[102:103], v[40:41], s[24:25], v[166:167]
	v_fma_f64 v[104:105], v[54:55], s[16:17], v[134:135]
	v_mul_f64 v[166:167], v[42:43], s[20:21]
	v_add_f64 v[114:115], v[20:21], v[114:115]
	v_mul_f64 v[42:43], v[42:43], s[34:35]
	v_add_f64 v[150:151], v[168:169], v[150:151]
	v_fma_f64 v[142:143], v[30:31], s[2:3], v[142:143]
	v_fma_f64 v[122:123], v[16:17], s[10:11], v[122:123]
	v_fma_f64 v[134:135], v[48:49], s[24:25], -v[132:133]
	v_fma_f64 v[136:137], v[44:45], s[24:25], v[158:159]
	v_add_f64 v[144:145], v[144:145], v[148:149]
	v_mul_f64 v[148:149], v[26:27], s[34:35]
	v_mul_f64 v[26:27], v[26:27], s[28:29]
	v_fma_f64 v[158:159], v[44:45], s[24:25], -v[158:159]
	v_add_f64 v[78:79], v[78:79], v[106:107]
	v_add_f64 v[74:75], v[154:155], v[74:75]
	v_mul_f64 v[154:155], v[64:65], s[20:21]
	v_mul_f64 v[64:65], v[64:65], s[34:35]
	v_fma_f64 v[94:95], v[32:33], s[10:11], v[98:99]
	v_fma_f64 v[100:101], v[32:33], s[24:25], v[68:69]
	v_add_f64 v[76:77], v[146:147], v[76:77]
	v_fma_f64 v[68:69], v[32:33], s[24:25], -v[68:69]
	v_fma_f64 v[32:33], v[32:33], s[10:11], -v[98:99]
	v_add_f64 v[128:129], v[128:129], v[130:131]
	v_mul_f64 v[130:131], v[92:93], s[26:27]
	v_add_f64 v[104:105], v[104:105], v[114:115]
	v_mul_f64 v[114:115], v[86:87], s[22:23]
	v_mul_f64 v[86:87], v[86:87], s[36:37]
	v_fma_f64 v[170:171], v[54:55], s[24:25], v[42:43]
	v_fma_f64 v[106:107], v[44:45], s[18:19], v[110:111]
	v_add_f64 v[140:141], v[140:141], v[144:145]
	v_fma_f64 v[164:165], v[38:39], s[24:25], -v[148:149]
	v_fma_f64 v[144:145], v[38:39], s[10:11], -v[26:27]
	v_fma_f64 v[146:147], v[38:39], s[24:25], v[148:149]
	v_fma_f64 v[26:27], v[38:39], s[10:11], v[26:27]
	v_mul_f64 v[38:39], v[88:89], s[22:23]
	v_fma_f64 v[98:99], v[60:61], s[2:3], -v[154:155]
	v_mul_f64 v[88:89], v[88:89], s[36:37]
	v_fma_f64 v[168:169], v[60:61], s[24:25], -v[64:65]
	v_add_f64 v[90:91], v[20:21], v[94:95]
	v_add_f64 v[94:95], v[20:21], v[100:101]
	v_fma_f64 v[100:101], v[60:61], s[2:3], v[154:155]
	v_add_f64 v[68:69], v[20:21], v[68:69]
	v_fma_f64 v[60:61], v[60:61], s[24:25], v[64:65]
	v_add_f64 v[20:21], v[20:21], v[32:33]
	v_mul_f64 v[154:155], v[80:81], s[40:41]
	v_fma_f64 v[32:33], v[28:29], s[16:17], -v[114:115]
	v_mul_f64 v[64:65], v[72:73], s[20:21]
	v_mul_f64 v[72:73], v[80:81], s[20:21]
	v_fma_f64 v[80:81], v[28:29], s[0:1], -v[86:87]
	v_add_f64 v[58:59], v[142:143], v[104:105]
	v_add_f64 v[126:127], v[126:127], v[128:129]
	v_fma_f64 v[128:129], v[40:41], s[18:19], -v[130:131]
	v_add_f64 v[148:149], v[22:23], v[164:165]
	v_add_f64 v[144:145], v[22:23], v[144:145]
	v_fma_f64 v[164:165], v[54:55], s[2:3], v[166:167]
	v_add_f64 v[146:147], v[22:23], v[146:147]
	v_fma_f64 v[166:167], v[54:55], s[2:3], -v[166:167]
	v_add_f64 v[22:23], v[22:23], v[26:27]
	v_fma_f64 v[26:27], v[54:55], s[24:25], -v[42:43]
	v_fma_f64 v[54:55], v[30:31], s[16:17], v[38:39]
	v_add_f64 v[66:67], v[170:171], v[90:91]
	v_fma_f64 v[38:39], v[30:31], s[16:17], -v[38:39]
	v_mul_f64 v[90:91], v[50:51], s[8:9]
	v_mul_f64 v[50:51], v[50:51], s[26:27]
	v_add_f64 v[52:53], v[122:123], v[58:59]
	v_add_f64 v[42:43], v[98:99], v[148:149]
	;; [unrolled: 1-line block ×3, first 2 shown]
	v_fma_f64 v[144:145], v[30:31], s[0:1], v[88:89]
	v_add_f64 v[70:71], v[164:165], v[94:95]
	v_fma_f64 v[94:95], v[28:29], s[16:17], v[114:115]
	v_add_f64 v[100:101], v[100:101], v[146:147]
	v_add_f64 v[68:69], v[166:167], v[68:69]
	v_fma_f64 v[28:29], v[28:29], s[0:1], v[86:87]
	v_add_f64 v[22:23], v[60:61], v[22:23]
	v_fma_f64 v[30:31], v[30:31], s[0:1], -v[88:89]
	v_add_f64 v[20:21], v[26:27], v[20:21]
	v_mul_f64 v[114:115], v[62:63], s[8:9]
	v_fma_f64 v[26:27], v[12:13], s[18:19], -v[96:97]
	v_mul_f64 v[60:61], v[62:63], s[26:27]
	v_fma_f64 v[62:63], v[12:13], s[2:3], -v[64:65]
	v_fma_f64 v[86:87], v[16:17], s[2:3], v[72:73]
	v_add_f64 v[32:33], v[32:33], v[42:43]
	v_add_f64 v[80:81], v[80:81], v[98:99]
	;; [unrolled: 1-line block ×3, first 2 shown]
	v_fma_f64 v[42:43], v[16:17], s[18:19], v[154:155]
	v_add_f64 v[54:55], v[54:55], v[70:71]
	v_fma_f64 v[70:71], v[12:13], s[18:19], v[96:97]
	v_add_f64 v[88:89], v[94:95], v[100:101]
	v_fma_f64 v[94:95], v[16:17], s[18:19], -v[154:155]
	v_add_f64 v[38:39], v[38:39], v[68:69]
	v_fma_f64 v[12:13], v[12:13], s[2:3], v[64:65]
	v_add_f64 v[22:23], v[28:29], v[22:23]
	v_fma_f64 v[16:17], v[16:17], s[2:3], -v[72:73]
	v_add_f64 v[20:21], v[30:31], v[20:21]
	v_fma_f64 v[28:29], v[46:47], s[0:1], -v[90:91]
	v_mul_f64 v[64:65], v[92:93], s[22:23]
	v_fma_f64 v[68:69], v[46:47], s[18:19], -v[50:51]
	v_fma_f64 v[72:73], v[48:49], s[18:19], v[60:61]
	v_fma_f64 v[30:31], v[48:49], s[0:1], v[114:115]
	;; [unrolled: 1-line block ×3, first 2 shown]
	v_add_f64 v[26:27], v[26:27], v[32:33]
	v_mul_f64 v[32:33], v[84:85], s[22:23]
	v_add_f64 v[62:63], v[62:63], v[80:81]
	v_add_f64 v[24:25], v[86:87], v[56:57]
	v_add_f64 v[42:43], v[42:43], v[54:55]
	v_fma_f64 v[56:57], v[46:47], s[0:1], v[90:91]
	v_add_f64 v[58:59], v[70:71], v[88:89]
	v_fma_f64 v[70:71], v[48:49], s[0:1], -v[114:115]
	v_add_f64 v[38:39], v[94:95], v[38:39]
	v_fma_f64 v[46:47], v[46:47], s[18:19], v[50:51]
	v_add_f64 v[12:13], v[12:13], v[22:23]
	v_fma_f64 v[22:23], v[48:49], s[18:19], -v[60:61]
	v_add_f64 v[16:17], v[16:17], v[20:21]
	v_add_f64 v[20:21], v[116:117], v[76:77]
	;; [unrolled: 1-line block ×4, first 2 shown]
	v_fma_f64 v[50:51], v[44:45], s[10:11], -v[156:157]
	v_fma_f64 v[60:61], v[40:41], s[10:11], v[160:161]
	v_fma_f64 v[54:55], v[44:45], s[18:19], -v[110:111]
	v_fma_f64 v[48:49], v[40:41], s[18:19], v[130:131]
	v_add_f64 v[52:53], v[66:67], v[52:53]
	v_add_f64 v[66:67], v[134:135], v[140:141]
	v_add_f64 v[26:27], v[28:29], v[26:27]
	v_fma_f64 v[28:29], v[44:45], s[16:17], -v[32:33]
	v_add_f64 v[62:63], v[68:69], v[62:63]
	v_fma_f64 v[68:69], v[40:41], s[16:17], v[64:65]
	v_add_f64 v[24:25], v[72:73], v[24:25]
	v_add_f64 v[42:43], v[30:31], v[42:43]
	v_fma_f64 v[72:73], v[44:45], s[10:11], v[156:157]
	v_add_f64 v[56:57], v[56:57], v[58:59]
	v_fma_f64 v[58:59], v[40:41], s[10:11], -v[160:161]
	v_add_f64 v[70:71], v[70:71], v[38:39]
	v_fma_f64 v[32:33], v[44:45], s[16:17], v[32:33]
	v_add_f64 v[84:85], v[46:47], v[12:13]
	v_fma_f64 v[64:65], v[40:41], s[16:17], -v[64:65]
	v_add_f64 v[86:87], v[22:23], v[16:17]
	v_add_f64 v[36:37], v[76:77], v[36:37]
	;; [unrolled: 1-line block ×23, first 2 shown]
	ds_write_b128 v255, v[34:37]
	ds_write_b128 v255, v[28:31] offset:2080
	ds_write_b128 v255, v[24:27] offset:4160
	;; [unrolled: 1-line block ×12, first 2 shown]
.LBB0_21:
	s_or_b32 exec_lo, exec_lo, s33
	s_waitcnt lgkmcnt(0)
	s_barrier
	buffer_gl0_inv
	s_and_b32 exec_lo, exec_lo, vcc_lo
	s_cbranch_execz .LBB0_23
; %bb.22:
	v_add_co_u32 v0, s0, s14, v255
	v_add_co_ci_u32_e64 v1, null, s15, 0, s0
	s_mul_i32 s0, s5, 0x820
	v_add_co_u32 v6, vcc_lo, 0x800, v0
	v_add_co_ci_u32_e32 v7, vcc_lo, 0, v1, vcc_lo
	v_add_co_u32 v10, vcc_lo, 0x1000, v0
	v_add_co_ci_u32_e32 v11, vcc_lo, 0, v1, vcc_lo
	;; [unrolled: 2-line block ×11, first 2 shown]
	s_clause 0xb
	global_load_dwordx4 v[2:5], v255, s[14:15]
	global_load_dwordx4 v[6:9], v[6:7], off offset:32
	global_load_dwordx4 v[10:13], v[10:11], off offset:64
	;; [unrolled: 1-line block ×11, first 2 shown]
	s_clause 0x2
	buffer_load_dword v50, off, s[48:51], 0 offset:4
	buffer_load_dword v51, off, s[48:51], 0 offset:8
	buffer_load_dword v56, off, s[48:51], 0
	s_mul_hi_u32 s1, s4, 0x820
	s_mul_i32 s2, s4, 0x820
	s_add_i32 s3, s1, s0
	s_mov_b32 s0, 0x622898b1
	s_mov_b32 s1, 0x3f4363ac
	s_waitcnt vmcnt(2)
	v_mov_b32_e32 v54, v50
	s_waitcnt vmcnt(0)
	v_mad_u64_u32 v[52:53], null, s4, v56, 0
	v_mad_u64_u32 v[50:51], null, s6, v54, 0
	v_mad_u64_u32 v[54:55], null, s7, v54, v[51:52]
	v_mad_u64_u32 v[55:56], null, s5, v56, v[53:54]
	v_mov_b32_e32 v51, v54
	v_lshlrev_b64 v[50:51], 4, v[50:51]
	v_mov_b32_e32 v53, v55
	v_lshlrev_b64 v[52:53], 4, v[52:53]
	v_add_co_u32 v50, vcc_lo, s12, v50
	v_add_co_ci_u32_e32 v51, vcc_lo, s13, v51, vcc_lo
	v_add_co_u32 v102, vcc_lo, v50, v52
	v_add_co_ci_u32_e32 v103, vcc_lo, v51, v53, vcc_lo
	ds_read_b128 v[50:53], v255
	ds_read_b128 v[54:57], v255 offset:2080
	ds_read_b128 v[58:61], v255 offset:4160
	;; [unrolled: 1-line block ×11, first 2 shown]
	v_add_co_u32 v104, vcc_lo, v102, s2
	v_add_co_ci_u32_e32 v105, vcc_lo, s3, v103, vcc_lo
	ds_read_b128 v[98:101], v255 offset:24960
	v_add_co_u32 v106, vcc_lo, v104, s2
	v_add_co_ci_u32_e32 v107, vcc_lo, s3, v105, vcc_lo
	v_add_co_u32 v108, vcc_lo, v106, s2
	v_add_co_ci_u32_e32 v109, vcc_lo, s3, v107, vcc_lo
	s_waitcnt lgkmcnt(12)
	v_mul_f64 v[122:123], v[52:53], v[4:5]
	v_mul_f64 v[4:5], v[50:51], v[4:5]
	s_waitcnt lgkmcnt(11)
	v_mul_f64 v[124:125], v[56:57], v[8:9]
	v_mul_f64 v[8:9], v[54:55], v[8:9]
	;; [unrolled: 3-line block ×12, first 2 shown]
	v_fma_f64 v[50:51], v[50:51], v[2:3], v[122:123]
	v_fma_f64 v[4:5], v[2:3], v[52:53], -v[4:5]
	v_fma_f64 v[52:53], v[54:55], v[6:7], v[124:125]
	v_fma_f64 v[8:9], v[6:7], v[56:57], -v[8:9]
	;; [unrolled: 2-line block ×5, first 2 shown]
	v_add_co_u32 v110, vcc_lo, v108, s2
	v_fma_f64 v[60:61], v[70:71], v[22:23], v[132:133]
	v_fma_f64 v[24:25], v[22:23], v[72:73], -v[24:25]
	v_fma_f64 v[62:63], v[74:75], v[26:27], v[134:135]
	v_fma_f64 v[28:29], v[26:27], v[76:77], -v[28:29]
	v_add_co_ci_u32_e32 v111, vcc_lo, s3, v109, vcc_lo
	v_fma_f64 v[64:65], v[78:79], v[30:31], v[136:137]
	v_fma_f64 v[32:33], v[30:31], v[80:81], -v[32:33]
	v_fma_f64 v[66:67], v[82:83], v[34:35], v[138:139]
	v_fma_f64 v[36:37], v[34:35], v[84:85], -v[36:37]
	;; [unrolled: 2-line block ×3, first 2 shown]
	v_add_co_u32 v112, vcc_lo, v110, s2
	v_fma_f64 v[70:71], v[90:91], v[42:43], v[142:143]
	v_fma_f64 v[44:45], v[42:43], v[92:93], -v[44:45]
	v_fma_f64 v[72:73], v[94:95], v[46:47], v[144:145]
	v_fma_f64 v[48:49], v[46:47], v[96:97], -v[48:49]
	v_add_co_ci_u32_e32 v113, vcc_lo, s3, v111, vcc_lo
	v_add_co_u32 v114, vcc_lo, v112, s2
	v_mul_f64 v[2:3], v[50:51], s[0:1]
	v_add_co_ci_u32_e32 v115, vcc_lo, s3, v113, vcc_lo
	v_add_co_u32 v116, vcc_lo, v114, s2
	v_mul_f64 v[4:5], v[4:5], s[0:1]
	v_add_co_ci_u32_e32 v117, vcc_lo, s3, v115, vcc_lo
	v_mul_f64 v[6:7], v[52:53], s[0:1]
	v_mul_f64 v[8:9], v[8:9], s[0:1]
	;; [unrolled: 1-line block ×4, first 2 shown]
	v_add_co_u32 v118, vcc_lo, v116, s2
	v_mul_f64 v[14:15], v[56:57], s[0:1]
	v_mul_f64 v[16:17], v[16:17], s[0:1]
	;; [unrolled: 1-line block ×4, first 2 shown]
	v_add_co_ci_u32_e32 v119, vcc_lo, s3, v117, vcc_lo
	v_mul_f64 v[22:23], v[60:61], s[0:1]
	v_mul_f64 v[24:25], v[24:25], s[0:1]
	;; [unrolled: 1-line block ×6, first 2 shown]
	v_add_co_u32 v120, vcc_lo, v118, s2
	v_mul_f64 v[34:35], v[66:67], s[0:1]
	v_mul_f64 v[36:37], v[36:37], s[0:1]
	v_mul_f64 v[38:39], v[68:69], s[0:1]
	v_mul_f64 v[40:41], v[40:41], s[0:1]
	v_add_co_ci_u32_e32 v121, vcc_lo, s3, v119, vcc_lo
	v_mul_f64 v[42:43], v[70:71], s[0:1]
	v_mul_f64 v[44:45], v[44:45], s[0:1]
	;; [unrolled: 1-line block ×4, first 2 shown]
	v_add_co_u32 v50, vcc_lo, v120, s2
	v_add_co_ci_u32_e32 v51, vcc_lo, s3, v121, vcc_lo
	v_add_co_u32 v0, vcc_lo, 0x6000, v0
	v_add_co_ci_u32_e32 v1, vcc_lo, 0, v1, vcc_lo
	v_add_co_u32 v52, vcc_lo, v50, s2
	v_add_co_ci_u32_e32 v53, vcc_lo, s3, v51, vcc_lo
	global_store_dwordx4 v[102:103], v[2:5], off
	global_store_dwordx4 v[104:105], v[6:9], off
	;; [unrolled: 1-line block ×12, first 2 shown]
	global_load_dwordx4 v[0:3], v[0:1], off offset:384
	s_waitcnt vmcnt(0) lgkmcnt(0)
	v_mul_f64 v[4:5], v[100:101], v[2:3]
	v_mul_f64 v[2:3], v[98:99], v[2:3]
	v_fma_f64 v[4:5], v[98:99], v[0:1], v[4:5]
	v_fma_f64 v[2:3], v[0:1], v[100:101], -v[2:3]
	v_mul_f64 v[0:1], v[4:5], s[0:1]
	v_mul_f64 v[2:3], v[2:3], s[0:1]
	v_add_co_u32 v4, vcc_lo, v52, s2
	v_add_co_ci_u32_e32 v5, vcc_lo, s3, v53, vcc_lo
	global_store_dwordx4 v[4:5], v[0:3], off
.LBB0_23:
	s_endpgm
	.section	.rodata,"a",@progbits
	.p2align	6, 0x0
	.amdhsa_kernel bluestein_single_back_len1690_dim1_dp_op_CI_CI
		.amdhsa_group_segment_fixed_size 27040
		.amdhsa_private_segment_fixed_size 84
		.amdhsa_kernarg_size 104
		.amdhsa_user_sgpr_count 6
		.amdhsa_user_sgpr_private_segment_buffer 1
		.amdhsa_user_sgpr_dispatch_ptr 0
		.amdhsa_user_sgpr_queue_ptr 0
		.amdhsa_user_sgpr_kernarg_segment_ptr 1
		.amdhsa_user_sgpr_dispatch_id 0
		.amdhsa_user_sgpr_flat_scratch_init 0
		.amdhsa_user_sgpr_private_segment_size 0
		.amdhsa_wavefront_size32 1
		.amdhsa_uses_dynamic_stack 0
		.amdhsa_system_sgpr_private_segment_wavefront_offset 1
		.amdhsa_system_sgpr_workgroup_id_x 1
		.amdhsa_system_sgpr_workgroup_id_y 0
		.amdhsa_system_sgpr_workgroup_id_z 0
		.amdhsa_system_sgpr_workgroup_info 0
		.amdhsa_system_vgpr_workitem_id 0
		.amdhsa_next_free_vgpr 256
		.amdhsa_next_free_sgpr 52
		.amdhsa_reserve_vcc 1
		.amdhsa_reserve_flat_scratch 0
		.amdhsa_float_round_mode_32 0
		.amdhsa_float_round_mode_16_64 0
		.amdhsa_float_denorm_mode_32 3
		.amdhsa_float_denorm_mode_16_64 3
		.amdhsa_dx10_clamp 1
		.amdhsa_ieee_mode 1
		.amdhsa_fp16_overflow 0
		.amdhsa_workgroup_processor_mode 1
		.amdhsa_memory_ordered 1
		.amdhsa_forward_progress 0
		.amdhsa_shared_vgpr_count 0
		.amdhsa_exception_fp_ieee_invalid_op 0
		.amdhsa_exception_fp_denorm_src 0
		.amdhsa_exception_fp_ieee_div_zero 0
		.amdhsa_exception_fp_ieee_overflow 0
		.amdhsa_exception_fp_ieee_underflow 0
		.amdhsa_exception_fp_ieee_inexact 0
		.amdhsa_exception_int_div_zero 0
	.end_amdhsa_kernel
	.text
.Lfunc_end0:
	.size	bluestein_single_back_len1690_dim1_dp_op_CI_CI, .Lfunc_end0-bluestein_single_back_len1690_dim1_dp_op_CI_CI
                                        ; -- End function
	.section	.AMDGPU.csdata,"",@progbits
; Kernel info:
; codeLenInByte = 25092
; NumSgprs: 54
; NumVgprs: 256
; ScratchSize: 84
; MemoryBound: 0
; FloatMode: 240
; IeeeMode: 1
; LDSByteSize: 27040 bytes/workgroup (compile time only)
; SGPRBlocks: 6
; VGPRBlocks: 31
; NumSGPRsForWavesPerEU: 54
; NumVGPRsForWavesPerEU: 256
; Occupancy: 4
; WaveLimiterHint : 1
; COMPUTE_PGM_RSRC2:SCRATCH_EN: 1
; COMPUTE_PGM_RSRC2:USER_SGPR: 6
; COMPUTE_PGM_RSRC2:TRAP_HANDLER: 0
; COMPUTE_PGM_RSRC2:TGID_X_EN: 1
; COMPUTE_PGM_RSRC2:TGID_Y_EN: 0
; COMPUTE_PGM_RSRC2:TGID_Z_EN: 0
; COMPUTE_PGM_RSRC2:TIDIG_COMP_CNT: 0
	.text
	.p2alignl 6, 3214868480
	.fill 48, 4, 3214868480
	.type	__hip_cuid_29d16f8965cdf8b8,@object ; @__hip_cuid_29d16f8965cdf8b8
	.section	.bss,"aw",@nobits
	.globl	__hip_cuid_29d16f8965cdf8b8
__hip_cuid_29d16f8965cdf8b8:
	.byte	0                               ; 0x0
	.size	__hip_cuid_29d16f8965cdf8b8, 1

	.ident	"AMD clang version 19.0.0git (https://github.com/RadeonOpenCompute/llvm-project roc-6.4.0 25133 c7fe45cf4b819c5991fe208aaa96edf142730f1d)"
	.section	".note.GNU-stack","",@progbits
	.addrsig
	.addrsig_sym __hip_cuid_29d16f8965cdf8b8
	.amdgpu_metadata
---
amdhsa.kernels:
  - .args:
      - .actual_access:  read_only
        .address_space:  global
        .offset:         0
        .size:           8
        .value_kind:     global_buffer
      - .actual_access:  read_only
        .address_space:  global
        .offset:         8
        .size:           8
        .value_kind:     global_buffer
      - .actual_access:  read_only
        .address_space:  global
        .offset:         16
        .size:           8
        .value_kind:     global_buffer
      - .actual_access:  read_only
        .address_space:  global
        .offset:         24
        .size:           8
        .value_kind:     global_buffer
      - .actual_access:  read_only
        .address_space:  global
        .offset:         32
        .size:           8
        .value_kind:     global_buffer
      - .offset:         40
        .size:           8
        .value_kind:     by_value
      - .address_space:  global
        .offset:         48
        .size:           8
        .value_kind:     global_buffer
      - .address_space:  global
        .offset:         56
        .size:           8
        .value_kind:     global_buffer
      - .address_space:  global
        .offset:         64
        .size:           8
        .value_kind:     global_buffer
      - .address_space:  global
        .offset:         72
        .size:           8
        .value_kind:     global_buffer
      - .offset:         80
        .size:           4
        .value_kind:     by_value
      - .address_space:  global
        .offset:         88
        .size:           8
        .value_kind:     global_buffer
      - .address_space:  global
        .offset:         96
        .size:           8
        .value_kind:     global_buffer
    .group_segment_fixed_size: 27040
    .kernarg_segment_align: 8
    .kernarg_segment_size: 104
    .language:       OpenCL C
    .language_version:
      - 2
      - 0
    .max_flat_workgroup_size: 169
    .name:           bluestein_single_back_len1690_dim1_dp_op_CI_CI
    .private_segment_fixed_size: 84
    .sgpr_count:     54
    .sgpr_spill_count: 0
    .symbol:         bluestein_single_back_len1690_dim1_dp_op_CI_CI.kd
    .uniform_work_group_size: 1
    .uses_dynamic_stack: false
    .vgpr_count:     256
    .vgpr_spill_count: 20
    .wavefront_size: 32
    .workgroup_processor_mode: 1
amdhsa.target:   amdgcn-amd-amdhsa--gfx1030
amdhsa.version:
  - 1
  - 2
...

	.end_amdgpu_metadata
